;; amdgpu-corpus repo=ROCm/rocFFT kind=compiled arch=gfx906 opt=O3
	.text
	.amdgcn_target "amdgcn-amd-amdhsa--gfx906"
	.amdhsa_code_object_version 6
	.protected	fft_rtc_fwd_len1352_factors_2_13_13_4_wgs_52_tpt_52_halfLds_sp_ip_CI_unitstride_sbrr_dirReg ; -- Begin function fft_rtc_fwd_len1352_factors_2_13_13_4_wgs_52_tpt_52_halfLds_sp_ip_CI_unitstride_sbrr_dirReg
	.globl	fft_rtc_fwd_len1352_factors_2_13_13_4_wgs_52_tpt_52_halfLds_sp_ip_CI_unitstride_sbrr_dirReg
	.p2align	8
	.type	fft_rtc_fwd_len1352_factors_2_13_13_4_wgs_52_tpt_52_halfLds_sp_ip_CI_unitstride_sbrr_dirReg,@function
fft_rtc_fwd_len1352_factors_2_13_13_4_wgs_52_tpt_52_halfLds_sp_ip_CI_unitstride_sbrr_dirReg: ; @fft_rtc_fwd_len1352_factors_2_13_13_4_wgs_52_tpt_52_halfLds_sp_ip_CI_unitstride_sbrr_dirReg
; %bb.0:
	s_load_dwordx2 s[12:13], s[4:5], 0x50
	s_load_dwordx4 s[8:11], s[4:5], 0x0
	s_load_dwordx2 s[2:3], s[4:5], 0x18
	v_mul_u32_u24_e32 v1, 0x4ed, v0
	v_add_u32_sdwa v5, s6, v1 dst_sel:DWORD dst_unused:UNUSED_PAD src0_sel:DWORD src1_sel:WORD_1
	v_mov_b32_e32 v3, 0
	s_waitcnt lgkmcnt(0)
	v_cmp_lt_u64_e64 s[0:1], s[10:11], 2
	v_mov_b32_e32 v1, 0
	v_mov_b32_e32 v6, v3
	s_and_b64 vcc, exec, s[0:1]
	v_mov_b32_e32 v2, 0
	s_cbranch_vccnz .LBB0_8
; %bb.1:
	s_load_dwordx2 s[0:1], s[4:5], 0x10
	s_add_u32 s6, s2, 8
	s_addc_u32 s7, s3, 0
	v_mov_b32_e32 v1, 0
	v_mov_b32_e32 v2, 0
	s_waitcnt lgkmcnt(0)
	s_add_u32 s14, s0, 8
	s_addc_u32 s15, s1, 0
	s_mov_b64 s[16:17], 1
.LBB0_2:                                ; =>This Inner Loop Header: Depth=1
	s_load_dwordx2 s[18:19], s[14:15], 0x0
                                        ; implicit-def: $vgpr7_vgpr8
	s_waitcnt lgkmcnt(0)
	v_or_b32_e32 v4, s19, v6
	v_cmp_ne_u64_e32 vcc, 0, v[3:4]
	s_and_saveexec_b64 s[0:1], vcc
	s_xor_b64 s[20:21], exec, s[0:1]
	s_cbranch_execz .LBB0_4
; %bb.3:                                ;   in Loop: Header=BB0_2 Depth=1
	v_cvt_f32_u32_e32 v4, s18
	v_cvt_f32_u32_e32 v7, s19
	s_sub_u32 s0, 0, s18
	s_subb_u32 s1, 0, s19
	v_mac_f32_e32 v4, 0x4f800000, v7
	v_rcp_f32_e32 v4, v4
	v_mul_f32_e32 v4, 0x5f7ffffc, v4
	v_mul_f32_e32 v7, 0x2f800000, v4
	v_trunc_f32_e32 v7, v7
	v_mac_f32_e32 v4, 0xcf800000, v7
	v_cvt_u32_f32_e32 v7, v7
	v_cvt_u32_f32_e32 v4, v4
	v_mul_lo_u32 v8, s0, v7
	v_mul_hi_u32 v9, s0, v4
	v_mul_lo_u32 v11, s1, v4
	v_mul_lo_u32 v10, s0, v4
	v_add_u32_e32 v8, v9, v8
	v_add_u32_e32 v8, v8, v11
	v_mul_hi_u32 v9, v4, v10
	v_mul_lo_u32 v11, v4, v8
	v_mul_hi_u32 v13, v4, v8
	v_mul_hi_u32 v12, v7, v10
	v_mul_lo_u32 v10, v7, v10
	v_mul_hi_u32 v14, v7, v8
	v_add_co_u32_e32 v9, vcc, v9, v11
	v_addc_co_u32_e32 v11, vcc, 0, v13, vcc
	v_mul_lo_u32 v8, v7, v8
	v_add_co_u32_e32 v9, vcc, v9, v10
	v_addc_co_u32_e32 v9, vcc, v11, v12, vcc
	v_addc_co_u32_e32 v10, vcc, 0, v14, vcc
	v_add_co_u32_e32 v8, vcc, v9, v8
	v_addc_co_u32_e32 v9, vcc, 0, v10, vcc
	v_add_co_u32_e32 v4, vcc, v4, v8
	v_addc_co_u32_e32 v7, vcc, v7, v9, vcc
	v_mul_lo_u32 v8, s0, v7
	v_mul_hi_u32 v9, s0, v4
	v_mul_lo_u32 v10, s1, v4
	v_mul_lo_u32 v11, s0, v4
	v_add_u32_e32 v8, v9, v8
	v_add_u32_e32 v8, v8, v10
	v_mul_lo_u32 v12, v4, v8
	v_mul_hi_u32 v13, v4, v11
	v_mul_hi_u32 v14, v4, v8
	;; [unrolled: 1-line block ×3, first 2 shown]
	v_mul_lo_u32 v11, v7, v11
	v_mul_hi_u32 v9, v7, v8
	v_add_co_u32_e32 v12, vcc, v13, v12
	v_addc_co_u32_e32 v13, vcc, 0, v14, vcc
	v_mul_lo_u32 v8, v7, v8
	v_add_co_u32_e32 v11, vcc, v12, v11
	v_addc_co_u32_e32 v10, vcc, v13, v10, vcc
	v_addc_co_u32_e32 v9, vcc, 0, v9, vcc
	v_add_co_u32_e32 v8, vcc, v10, v8
	v_addc_co_u32_e32 v9, vcc, 0, v9, vcc
	v_add_co_u32_e32 v4, vcc, v4, v8
	v_addc_co_u32_e32 v9, vcc, v7, v9, vcc
	v_mad_u64_u32 v[7:8], s[0:1], v5, v9, 0
	v_mul_hi_u32 v10, v5, v4
	v_add_co_u32_e32 v11, vcc, v10, v7
	v_addc_co_u32_e32 v12, vcc, 0, v8, vcc
	v_mad_u64_u32 v[7:8], s[0:1], v6, v4, 0
	v_mad_u64_u32 v[9:10], s[0:1], v6, v9, 0
	v_add_co_u32_e32 v4, vcc, v11, v7
	v_addc_co_u32_e32 v4, vcc, v12, v8, vcc
	v_addc_co_u32_e32 v7, vcc, 0, v10, vcc
	v_add_co_u32_e32 v4, vcc, v4, v9
	v_addc_co_u32_e32 v9, vcc, 0, v7, vcc
	v_mul_lo_u32 v10, s19, v4
	v_mul_lo_u32 v11, s18, v9
	v_mad_u64_u32 v[7:8], s[0:1], s18, v4, 0
	v_add3_u32 v8, v8, v11, v10
	v_sub_u32_e32 v10, v6, v8
	v_mov_b32_e32 v11, s19
	v_sub_co_u32_e32 v7, vcc, v5, v7
	v_subb_co_u32_e64 v10, s[0:1], v10, v11, vcc
	v_subrev_co_u32_e64 v11, s[0:1], s18, v7
	v_subbrev_co_u32_e64 v10, s[0:1], 0, v10, s[0:1]
	v_cmp_le_u32_e64 s[0:1], s19, v10
	v_cndmask_b32_e64 v12, 0, -1, s[0:1]
	v_cmp_le_u32_e64 s[0:1], s18, v11
	v_cndmask_b32_e64 v11, 0, -1, s[0:1]
	v_cmp_eq_u32_e64 s[0:1], s19, v10
	v_cndmask_b32_e64 v10, v12, v11, s[0:1]
	v_add_co_u32_e64 v11, s[0:1], 2, v4
	v_addc_co_u32_e64 v12, s[0:1], 0, v9, s[0:1]
	v_add_co_u32_e64 v13, s[0:1], 1, v4
	v_addc_co_u32_e64 v14, s[0:1], 0, v9, s[0:1]
	v_subb_co_u32_e32 v8, vcc, v6, v8, vcc
	v_cmp_ne_u32_e64 s[0:1], 0, v10
	v_cmp_le_u32_e32 vcc, s19, v8
	v_cndmask_b32_e64 v10, v14, v12, s[0:1]
	v_cndmask_b32_e64 v12, 0, -1, vcc
	v_cmp_le_u32_e32 vcc, s18, v7
	v_cndmask_b32_e64 v7, 0, -1, vcc
	v_cmp_eq_u32_e32 vcc, s19, v8
	v_cndmask_b32_e32 v7, v12, v7, vcc
	v_cmp_ne_u32_e32 vcc, 0, v7
	v_cndmask_b32_e64 v7, v13, v11, s[0:1]
	v_cndmask_b32_e32 v8, v9, v10, vcc
	v_cndmask_b32_e32 v7, v4, v7, vcc
.LBB0_4:                                ;   in Loop: Header=BB0_2 Depth=1
	s_andn2_saveexec_b64 s[0:1], s[20:21]
	s_cbranch_execz .LBB0_6
; %bb.5:                                ;   in Loop: Header=BB0_2 Depth=1
	v_cvt_f32_u32_e32 v4, s18
	s_sub_i32 s20, 0, s18
	v_rcp_iflag_f32_e32 v4, v4
	v_mul_f32_e32 v4, 0x4f7ffffe, v4
	v_cvt_u32_f32_e32 v4, v4
	v_mul_lo_u32 v7, s20, v4
	v_mul_hi_u32 v7, v4, v7
	v_add_u32_e32 v4, v4, v7
	v_mul_hi_u32 v4, v5, v4
	v_mul_lo_u32 v7, v4, s18
	v_add_u32_e32 v8, 1, v4
	v_sub_u32_e32 v7, v5, v7
	v_subrev_u32_e32 v9, s18, v7
	v_cmp_le_u32_e32 vcc, s18, v7
	v_cndmask_b32_e32 v7, v7, v9, vcc
	v_cndmask_b32_e32 v4, v4, v8, vcc
	v_add_u32_e32 v8, 1, v4
	v_cmp_le_u32_e32 vcc, s18, v7
	v_cndmask_b32_e32 v7, v4, v8, vcc
	v_mov_b32_e32 v8, v3
.LBB0_6:                                ;   in Loop: Header=BB0_2 Depth=1
	s_or_b64 exec, exec, s[0:1]
	v_mul_lo_u32 v4, v8, s18
	v_mul_lo_u32 v11, v7, s19
	v_mad_u64_u32 v[9:10], s[0:1], v7, s18, 0
	s_load_dwordx2 s[0:1], s[6:7], 0x0
	s_add_u32 s16, s16, 1
	v_add3_u32 v4, v10, v11, v4
	v_sub_co_u32_e32 v5, vcc, v5, v9
	v_subb_co_u32_e32 v4, vcc, v6, v4, vcc
	s_waitcnt lgkmcnt(0)
	v_mul_lo_u32 v4, s0, v4
	v_mul_lo_u32 v6, s1, v5
	v_mad_u64_u32 v[1:2], s[0:1], s0, v5, v[1:2]
	s_addc_u32 s17, s17, 0
	s_add_u32 s6, s6, 8
	v_add3_u32 v2, v6, v2, v4
	v_mov_b32_e32 v4, s10
	v_mov_b32_e32 v5, s11
	s_addc_u32 s7, s7, 0
	v_cmp_ge_u64_e32 vcc, s[16:17], v[4:5]
	s_add_u32 s14, s14, 8
	s_addc_u32 s15, s15, 0
	s_cbranch_vccnz .LBB0_9
; %bb.7:                                ;   in Loop: Header=BB0_2 Depth=1
	v_mov_b32_e32 v5, v7
	v_mov_b32_e32 v6, v8
	s_branch .LBB0_2
.LBB0_8:
	v_mov_b32_e32 v8, v6
	v_mov_b32_e32 v7, v5
.LBB0_9:
	s_lshl_b64 s[0:1], s[10:11], 3
	s_add_u32 s0, s2, s0
	s_addc_u32 s1, s3, s1
	s_load_dwordx2 s[2:3], s[0:1], 0x0
	s_load_dwordx2 s[6:7], s[4:5], 0x20
                                        ; implicit-def: $vgpr30
                                        ; implicit-def: $vgpr56
                                        ; implicit-def: $vgpr10
                                        ; implicit-def: $vgpr12
                                        ; implicit-def: $vgpr32
                                        ; implicit-def: $vgpr34
                                        ; implicit-def: $vgpr36
                                        ; implicit-def: $vgpr40
                                        ; implicit-def: $vgpr42
                                        ; implicit-def: $vgpr46
                                        ; implicit-def: $vgpr18
                                        ; implicit-def: $vgpr20
	s_waitcnt lgkmcnt(0)
	v_mad_u64_u32 v[1:2], s[0:1], s2, v7, v[1:2]
	s_mov_b32 s0, 0x4ec4ec5
	v_mul_lo_u32 v3, s2, v8
	v_mul_lo_u32 v4, s3, v7
	v_mul_hi_u32 v5, v0, s0
	v_cmp_gt_u64_e64 s[0:1], s[6:7], v[7:8]
                                        ; implicit-def: $vgpr8
	v_add3_u32 v2, v4, v2, v3
	v_mul_u32_u24_e32 v3, 52, v5
	v_mov_b32_e32 v5, 0
	v_mov_b32_e32 v6, 0
	v_sub_u32_e32 v0, v0, v3
	v_lshlrev_b64 v[2:3], 3, v[1:2]
	v_mov_b32_e32 v54, v6
	v_mov_b32_e32 v14, v6
	;; [unrolled: 1-line block ×24, first 2 shown]
	s_and_saveexec_b64 s[2:3], s[0:1]
	s_cbranch_execz .LBB0_11
; %bb.10:
	v_mov_b32_e32 v1, 0
	v_mov_b32_e32 v4, s13
	v_add_co_u32_e32 v11, vcc, s12, v2
	v_addc_co_u32_e32 v12, vcc, v4, v3, vcc
	v_lshlrev_b64 v[4:5], 3, v[0:1]
	v_or_b32_e32 v9, 0x340, v0
	v_add_co_u32_e32 v57, vcc, v11, v4
	v_addc_co_u32_e32 v58, vcc, v12, v5, vcc
	v_mov_b32_e32 v10, v1
	v_add_co_u32_e32 v59, vcc, 0x1000, v57
	v_lshlrev_b64 v[9:10], 3, v[9:10]
	v_addc_co_u32_e32 v60, vcc, 0, v58, vcc
	v_add_co_u32_e32 v29, vcc, v11, v9
	v_addc_co_u32_e32 v30, vcc, v12, v10, vcc
	s_movk_i32 s4, 0x2000
	v_add_co_u32_e32 v61, vcc, s4, v57
	global_load_dwordx2 v[7:8], v[59:60], off offset:2144
	global_load_dwordx2 v[5:6], v[57:58], off
	global_load_dwordx2 v[53:54], v[57:58], off offset:416
	global_load_dwordx2 v[13:14], v[57:58], off offset:832
	;; [unrolled: 1-line block ×5, first 2 shown]
	global_load_dwordx2 v[19:20], v[29:30], off
	global_load_dwordx2 v[11:12], v[59:60], off offset:3808
	global_load_dwordx2 v[21:22], v[57:58], off offset:1664
	global_load_dwordx2 v[23:24], v[57:58], off offset:2080
	global_load_dwordx2 v[25:26], v[57:58], off offset:2496
	global_load_dwordx2 v[27:28], v[57:58], off offset:2912
	v_addc_co_u32_e32 v62, vcc, 0, v58, vcc
	global_load_dwordx2 v[37:38], v[57:58], off offset:3328
	global_load_dwordx2 v[43:44], v[57:58], off offset:3744
	;; [unrolled: 1-line block ×13, first 2 shown]
.LBB0_11:
	s_or_b64 exec, exec, s[2:3]
	s_waitcnt vmcnt(7)
	v_sub_f32_e32 v58, v5, v29
	v_sub_f32_e32 v60, v54, v56
	v_fma_f32 v57, v5, 2.0, -v58
	v_sub_f32_e32 v5, v53, v55
	v_fma_f32 v59, v54, 2.0, -v60
	v_sub_f32_e32 v54, v13, v7
	s_waitcnt vmcnt(4)
	v_sub_f32_e32 v70, v37, v33
	v_fma_f32 v4, v53, 2.0, -v5
	v_fma_f32 v53, v13, 2.0, -v54
	v_sub_f32_e32 v56, v15, v19
	v_sub_f32_e32 v68, v27, v31
	v_fma_f32 v69, v37, 2.0, -v70
	v_lshl_add_u32 v37, v0, 3, 0
	v_fma_f32 v55, v15, 2.0, -v56
	v_fma_f32 v67, v27, 2.0, -v68
	s_waitcnt vmcnt(3)
	v_sub_f32_e32 v72, v43, v35
	ds_write2_b64 v37, v[57:58], v[53:54] offset1:104
	s_waitcnt vmcnt(2)
	v_sub_f32_e32 v58, v47, v39
	v_add_u32_e32 v39, 0x400, v37
	v_add_u32_e32 v35, 52, v0
	v_sub_f32_e32 v62, v21, v9
	ds_write2_b64 v39, v[55:56], v[67:68] offset0:28 offset1:236
	v_lshl_add_u32 v7, v35, 3, 0
	v_add_u32_e32 v55, 0xd0, v0
	v_fma_f32 v61, v21, 2.0, -v62
	v_sub_f32_e32 v64, v23, v17
	v_sub_f32_e32 v66, v25, v11
	v_fma_f32 v71, v43, 2.0, -v72
	s_waitcnt vmcnt(1)
	v_sub_f32_e32 v68, v49, v45
	ds_write_b64 v7, v[4:5]
	v_lshl_add_u32 v43, v55, 3, 0
	v_add_u32_e32 v54, 0x104, v0
	v_add_u32_e32 v1, 0x138, v0
	s_waitcnt vmcnt(0)
	v_sub_f32_e32 v5, v51, v41
	v_sub_f32_e32 v9, v14, v8
	v_fma_f32 v63, v23, 2.0, -v64
	v_fma_f32 v65, v25, 2.0, -v66
	;; [unrolled: 1-line block ×4, first 2 shown]
	ds_write_b64 v43, v[61:62]
	v_lshl_add_u32 v45, v54, 3, 0
	v_lshl_add_u32 v53, v1, 3, 0
	v_fma_f32 v4, v51, 2.0, -v5
	v_add_u32_e32 v61, 0x800, v37
	v_add_u32_e32 v62, 0x1000, v37
	v_lshl_add_u32 v56, v0, 2, 0
	v_fma_f32 v8, v14, 2.0, -v9
	v_sub_f32_e32 v14, v16, v20
	ds_write_b64 v45, v[63:64]
	ds_write_b64 v53, v[65:66]
	ds_write2_b64 v61, v[69:70], v[71:72] offset0:160 offset1:212
	ds_write2_b64 v62, v[57:58], v[67:68] offset0:8 offset1:60
	ds_write_b64 v37, v[4:5] offset:4992
	s_waitcnt lgkmcnt(0)
	; wave barrier
	s_waitcnt lgkmcnt(0)
	ds_read2_b32 v[4:5], v56 offset1:52
	v_add_u32_e32 v47, 0x200, v56
	v_add_u32_e32 v41, 0x400, v56
	;; [unrolled: 1-line block ×7, first 2 shown]
	ds_read2_b32 v[70:71], v56 offset0:104 offset1:156
	ds_read2_b32 v[73:74], v47 offset0:80 offset1:132
	ds_read2_b32 v[75:76], v41 offset0:56 offset1:108
	ds_read2_b32 v[77:78], v41 offset0:160 offset1:212
	ds_read2_b32 v[79:80], v49 offset0:8 offset1:60
	ds_read2_b32 v[81:82], v49 offset0:112 offset1:164
	ds_read2_b32 v[83:84], v33 offset0:88 offset1:140
	ds_read2_b32 v[85:86], v51 offset0:64 offset1:116
	ds_read2_b32 v[87:88], v51 offset0:168 offset1:220
	ds_read2_b32 v[89:90], v57 offset0:16 offset1:68
	ds_read2_b32 v[91:92], v57 offset0:120 offset1:172
	ds_read2_b32 v[93:94], v31 offset0:96 offset1:148
	s_waitcnt lgkmcnt(0)
	; wave barrier
	s_waitcnt lgkmcnt(0)
	ds_write_b64 v7, v[59:60]
	v_sub_f32_e32 v7, v6, v30
	v_fma_f32 v13, v16, 2.0, -v14
	v_sub_f32_e32 v11, v22, v10
	v_sub_f32_e32 v16, v24, v18
	;; [unrolled: 1-line block ×4, first 2 shown]
	v_fma_f32 v6, v6, 2.0, -v7
	v_fma_f32 v10, v22, 2.0, -v11
	;; [unrolled: 1-line block ×5, first 2 shown]
	v_sub_f32_e32 v22, v38, v34
	v_sub_f32_e32 v24, v44, v36
	;; [unrolled: 1-line block ×5, first 2 shown]
	v_fma_f32 v21, v38, 2.0, -v22
	v_fma_f32 v23, v44, 2.0, -v24
	;; [unrolled: 1-line block ×5, first 2 shown]
	ds_write2_b64 v37, v[6:7], v[8:9] offset1:104
	ds_write_b64 v43, v[10:11]
	ds_write_b64 v45, v[15:16]
	;; [unrolled: 1-line block ×3, first 2 shown]
	ds_write2_b64 v39, v[13:14], v[19:20] offset0:28 offset1:236
	ds_write2_b64 v61, v[21:22], v[23:24] offset0:160 offset1:212
	;; [unrolled: 1-line block ×3, first 2 shown]
	ds_write_b64 v37, v[29:30] offset:4992
	v_and_b32_e32 v6, 1, v0
	v_mul_u32_u24_e32 v7, 12, v6
	v_lshlrev_b32_e32 v21, 3, v7
	s_waitcnt lgkmcnt(0)
	; wave barrier
	s_waitcnt lgkmcnt(0)
	global_load_dwordx4 v[7:10], v21, s[8:9]
	global_load_dwordx4 v[11:14], v21, s[8:9] offset:16
	global_load_dwordx4 v[27:30], v21, s[8:9] offset:32
	global_load_dwordx4 v[62:65], v21, s[8:9] offset:48
	global_load_dwordx4 v[66:69], v21, s[8:9] offset:64
	ds_read2_b32 v[15:16], v56 offset0:104 offset1:156
	ds_read2_b32 v[17:18], v47 offset0:80 offset1:132
	;; [unrolled: 1-line block ×4, first 2 shown]
	s_mov_b32 s6, 0x3f62ad3f
	s_mov_b32 s7, 0x3f116cb1
	;; [unrolled: 1-line block ×6, first 2 shown]
	v_cmp_gt_u32_e64 s[2:3], 26, v0
	s_movk_i32 s4, 0x4f
	s_waitcnt vmcnt(4)
	v_mul_f32_e32 v48, v70, v8
	s_waitcnt lgkmcnt(3)
	v_mul_f32_e32 v22, v15, v8
	v_fmac_f32_e32 v48, v15, v7
	s_waitcnt lgkmcnt(2)
	v_mul_f32_e32 v15, v17, v10
	v_fma_f32 v44, v73, v9, -v15
	v_mul_f32_e32 v15, v16, v8
	v_fma_f32 v60, v70, v7, -v22
	;; [unrolled: 2-line block ×3, first 2 shown]
	v_mul_f32_e32 v59, v71, v8
	global_load_dwordx4 v[70:73], v21, s[8:9] offset:80
	v_fmac_f32_e32 v59, v16, v7
	v_mul_f32_e32 v7, v18, v10
	v_fma_f32 v22, v74, v9, -v7
	ds_read2_b32 v[7:8], v41 offset0:160 offset1:212
	v_mul_f32_e32 v21, v74, v10
	v_fmac_f32_e32 v43, v17, v9
	v_fmac_f32_e32 v21, v18, v9
	s_waitcnt vmcnt(4) lgkmcnt(2)
	v_mul_f32_e32 v9, v19, v12
	v_fma_f32 v46, v75, v11, -v9
	s_waitcnt lgkmcnt(0)
	v_mul_f32_e32 v9, v7, v14
	v_fma_f32 v40, v77, v13, -v9
	v_mul_f32_e32 v9, v20, v12
	v_fma_f32 v18, v76, v11, -v9
	v_mul_f32_e32 v9, v8, v14
	v_mul_f32_e32 v45, v75, v12
	;; [unrolled: 1-line block ×4, first 2 shown]
	v_fma_f32 v15, v78, v13, -v9
	ds_read2_b32 v[9:10], v49 offset0:8 offset1:60
	v_mul_f32_e32 v16, v78, v14
	v_fmac_f32_e32 v45, v19, v11
	v_fmac_f32_e32 v17, v20, v11
	v_fmac_f32_e32 v42, v7, v13
	v_fmac_f32_e32 v16, v8, v13
	ds_read2_b32 v[13:14], v49 offset0:112 offset1:164
	ds_read2_b32 v[19:20], v33 offset0:88 offset1:140
	s_waitcnt vmcnt(3) lgkmcnt(2)
	v_mul_f32_e32 v7, v9, v28
	v_mul_f32_e32 v36, v79, v28
	v_fma_f32 v37, v79, v27, -v7
	v_fmac_f32_e32 v36, v9, v27
	s_waitcnt lgkmcnt(1)
	v_mul_f32_e32 v7, v13, v30
	s_waitcnt vmcnt(2) lgkmcnt(0)
	v_mul_f32_e32 v9, v19, v63
	v_fma_f32 v25, v81, v29, -v7
	v_mul_f32_e32 v7, v10, v28
	v_mul_f32_e32 v11, v80, v28
	v_fma_f32 v32, v83, v62, -v9
	v_mul_f32_e32 v9, v23, v65
	v_fma_f32 v12, v80, v27, -v7
	v_mul_f32_e32 v26, v81, v30
	v_fmac_f32_e32 v11, v10, v27
	v_mul_f32_e32 v7, v14, v30
	v_mul_f32_e32 v8, v82, v30
	;; [unrolled: 1-line block ×3, first 2 shown]
	v_fma_f32 v38, v85, v64, -v9
	v_mul_f32_e32 v9, v20, v63
	v_mul_f32_e32 v10, v84, v63
	ds_read2_b32 v[27:28], v51 offset0:168 offset1:220
	v_fmac_f32_e32 v30, v19, v62
	v_fma_f32 v9, v84, v62, -v9
	v_fmac_f32_e32 v10, v20, v62
	ds_read2_b32 v[62:63], v57 offset0:16 offset1:68
	s_waitcnt vmcnt(1) lgkmcnt(1)
	v_mul_f32_e32 v19, v27, v67
	v_fma_f32 v52, v87, v66, -v19
	v_mul_f32_e32 v20, v88, v67
	v_fma_f32 v7, v82, v29, -v7
	s_waitcnt lgkmcnt(0)
	v_mul_f32_e32 v19, v62, v69
	v_fmac_f32_e32 v26, v13, v29
	v_fmac_f32_e32 v8, v14, v29
	v_mul_f32_e32 v50, v87, v67
	v_fma_f32 v53, v89, v68, -v19
	v_mul_f32_e32 v19, v28, v67
	v_fmac_f32_e32 v20, v28, v66
	ds_read2_b32 v[28:29], v57 offset0:120 offset1:172
	v_fmac_f32_e32 v50, v27, v66
	v_fma_f32 v19, v88, v66, -v19
	ds_read2_b32 v[66:67], v31 offset0:96 offset1:148
	v_mul_f32_e32 v14, v86, v65
	v_mul_f32_e32 v58, v89, v69
	;; [unrolled: 1-line block ×4, first 2 shown]
	v_fmac_f32_e32 v14, v24, v64
	v_mul_f32_e32 v24, v90, v69
	v_fmac_f32_e32 v58, v62, v68
	v_fma_f32 v13, v86, v64, -v13
	v_fmac_f32_e32 v39, v23, v64
	v_mul_f32_e32 v23, v63, v69
	v_fmac_f32_e32 v24, v63, v68
	v_fma_f32 v23, v90, v68, -v23
	v_add_f32_e32 v104, v4, v60
	s_waitcnt vmcnt(0) lgkmcnt(1)
	v_mul_f32_e32 v27, v28, v71
	v_mul_f32_e32 v62, v91, v71
	v_fma_f32 v63, v91, v70, -v27
	v_fmac_f32_e32 v62, v28, v70
	s_waitcnt lgkmcnt(0)
	v_mul_f32_e32 v27, v66, v73
	v_mul_f32_e32 v28, v92, v71
	;; [unrolled: 1-line block ×3, first 2 shown]
	v_fma_f32 v65, v93, v72, -v27
	v_mul_f32_e32 v27, v29, v71
	v_fmac_f32_e32 v64, v66, v72
	v_fmac_f32_e32 v28, v29, v70
	v_mul_f32_e32 v29, v67, v73
	v_fma_f32 v34, v94, v72, -v29
	v_mul_f32_e32 v29, v94, v73
	v_sub_f32_e32 v71, v48, v64
	v_sub_f32_e32 v81, v60, v65
	v_fma_f32 v27, v92, v70, -v27
	v_fmac_f32_e32 v29, v67, v72
	v_add_f32_e32 v70, v60, v65
	v_mul_f32_e32 v66, 0xbeedf032, v71
	v_mul_f32_e32 v68, 0xbf52af12, v71
	v_mul_f32_e32 v80, 0xbf7e222b, v71
	v_mul_f32_e32 v83, 0xbf6f5d39, v71
	v_mul_f32_e32 v86, 0xbf29c268, v71
	v_mul_f32_e32 v88, 0xbe750f2a, v71
	v_mul_f32_e32 v71, 0xbeedf032, v81
	v_mul_f32_e32 v73, 0xbf52af12, v81
	v_mul_f32_e32 v75, 0xbf7e222b, v81
	v_mul_f32_e32 v77, 0xbf6f5d39, v81
	v_mul_f32_e32 v79, 0xbf29c268, v81
	v_mul_f32_e32 v90, 0xbe750f2a, v81
	v_fma_f32 v67, v70, s6, -v66
	v_fmac_f32_e32 v66, 0x3f62ad3f, v70
	v_fma_f32 v69, v70, s7, -v68
	v_fmac_f32_e32 v68, 0x3f116cb1, v70
	;; [unrolled: 2-line block ×6, first 2 shown]
	v_add_f32_e32 v84, v48, v64
	v_mov_b32_e32 v70, v71
	v_mov_b32_e32 v72, v73
	;; [unrolled: 1-line block ×6, first 2 shown]
	v_sub_f32_e32 v91, v59, v29
	v_fmac_f32_e32 v70, 0x3f62ad3f, v84
	v_fma_f32 v71, v84, s6, -v71
	v_fmac_f32_e32 v72, 0x3f116cb1, v84
	v_fma_f32 v73, v84, s7, -v73
	v_fmac_f32_e32 v74, 0x3df6dbef, v84
	v_fma_f32 v75, v84, s10, -v75
	v_fmac_f32_e32 v76, 0xbeb58ec6, v84
	v_fma_f32 v77, v84, s11, -v77
	v_fmac_f32_e32 v78, 0xbf3f9e67, v84
	v_fma_f32 v79, v84, s14, -v79
	v_fmac_f32_e32 v81, 0xbf788fa5, v84
	v_fma_f32 v84, v84, s15, -v90
	v_add_f32_e32 v90, v61, v34
	v_mul_f32_e32 v92, 0xbeedf032, v91
	v_fma_f32 v93, v90, s6, -v92
	v_fmac_f32_e32 v92, 0x3f62ad3f, v90
	v_mul_f32_e32 v94, 0xbf52af12, v91
	v_mul_f32_e32 v96, 0xbf7e222b, v91
	;; [unrolled: 1-line block ×5, first 2 shown]
	v_fma_f32 v95, v90, s7, -v94
	v_fmac_f32_e32 v94, 0x3f116cb1, v90
	v_fma_f32 v97, v90, s10, -v96
	v_fmac_f32_e32 v96, 0x3df6dbef, v90
	;; [unrolled: 2-line block ×5, first 2 shown]
	v_add_f32_e32 v90, v5, v92
	v_add_f32_e32 v92, v5, v61
	v_sub_f32_e32 v61, v61, v34
	v_add_f32_e32 v67, v4, v67
	v_add_f32_e32 v105, v4, v66
	;; [unrolled: 1-line block ×14, first 2 shown]
	v_mul_f32_e32 v4, 0xbeedf032, v61
	v_add_f32_e32 v89, v5, v95
	v_add_f32_e32 v88, v5, v94
	v_mov_b32_e32 v94, v4
	v_fma_f32 v95, v93, s6, -v4
	v_mul_f32_e32 v4, 0xbf52af12, v61
	v_add_f32_e32 v87, v5, v97
	v_add_f32_e32 v86, v5, v96
	v_mov_b32_e32 v96, v4
	v_fma_f32 v97, v93, s7, -v4
	;; [unrolled: 5-line block ×5, first 2 shown]
	ds_read2_b32 v[4:5], v56 offset1:52
	v_mul_f32_e32 v61, 0xbe750f2a, v61
	v_mov_b32_e32 v114, v61
	v_fmac_f32_e32 v94, 0x3f62ad3f, v93
	v_fmac_f32_e32 v96, 0x3f116cb1, v93
	;; [unrolled: 1-line block ×6, first 2 shown]
	v_fma_f32 v61, v93, s15, -v61
	s_waitcnt lgkmcnt(0)
	v_add_f32_e32 v48, v4, v48
	v_add_f32_e32 v59, v5, v59
	;; [unrolled: 1-line block ×48, first 2 shown]
	v_sub_f32_e32 v44, v44, v63
	v_add_f32_e32 v63, v43, v62
	v_sub_f32_e32 v43, v43, v62
	v_mul_f32_e32 v62, 0xbf52af12, v43
	v_add_f32_e32 v4, v4, v65
	v_fma_f32 v64, v5, s7, -v62
	v_mul_f32_e32 v65, 0xbf52af12, v44
	v_add_f32_e32 v64, v64, v67
	v_mov_b32_e32 v67, v65
	v_fmac_f32_e32 v67, 0x3f116cb1, v63
	v_add_f32_e32 v67, v67, v70
	v_fma_f32 v65, v63, s7, -v65
	v_mul_f32_e32 v70, 0xbf6f5d39, v43
	v_add_f32_e32 v65, v65, v71
	v_fma_f32 v71, v5, s11, -v70
	v_add_f32_e32 v69, v71, v69
	v_mul_f32_e32 v71, 0xbf6f5d39, v44
	v_mov_b32_e32 v104, v71
	v_fmac_f32_e32 v104, 0xbeb58ec6, v63
	v_fmac_f32_e32 v62, 0x3f116cb1, v5
	v_add_f32_e32 v72, v104, v72
	v_fmac_f32_e32 v70, 0xbeb58ec6, v5
	v_mul_f32_e32 v104, 0xbe750f2a, v44
	v_add_f32_e32 v62, v62, v105
	v_add_f32_e32 v68, v70, v68
	v_fma_f32 v70, v63, s11, -v71
	v_mul_f32_e32 v71, 0xbe750f2a, v43
	v_mov_b32_e32 v105, v104
	v_fma_f32 v104, v63, s15, -v104
	v_add_f32_e32 v70, v70, v73
	v_fma_f32 v73, v5, s15, -v71
	v_fmac_f32_e32 v105, 0xbf788fa5, v63
	v_add_f32_e32 v75, v104, v75
	v_mul_f32_e32 v104, 0x3f29c268, v43
	v_add_f32_e32 v73, v73, v106
	v_add_f32_e32 v74, v105, v74
	v_fmac_f32_e32 v71, 0xbf788fa5, v5
	v_fma_f32 v105, v5, s14, -v104
	v_mul_f32_e32 v106, 0x3f29c268, v44
	v_add_f32_e32 v71, v71, v107
	v_add_f32_e32 v105, v105, v108
	v_mov_b32_e32 v107, v106
	v_fmac_f32_e32 v104, 0xbf3f9e67, v5
	v_fma_f32 v106, v63, s14, -v106
	v_mul_f32_e32 v108, 0x3f7e222b, v44
	v_add_f32_e32 v104, v104, v109
	v_add_f32_e32 v77, v106, v77
	v_mul_f32_e32 v106, 0x3f7e222b, v43
	v_mov_b32_e32 v109, v108
	v_fma_f32 v108, v63, s10, -v108
	v_mul_f32_e32 v43, 0x3eedf032, v43
	v_fmac_f32_e32 v107, 0xbf3f9e67, v63
	v_fmac_f32_e32 v109, 0x3df6dbef, v63
	v_add_f32_e32 v79, v108, v79
	v_fma_f32 v108, v5, s6, -v43
	v_mul_f32_e32 v44, 0x3eedf032, v44
	v_fmac_f32_e32 v43, 0x3f62ad3f, v5
	v_add_f32_e32 v76, v107, v76
	v_fma_f32 v107, v5, s10, -v106
	v_add_f32_e32 v78, v109, v78
	v_fmac_f32_e32 v106, 0x3df6dbef, v5
	v_mov_b32_e32 v109, v44
	v_add_f32_e32 v5, v43, v113
	v_fma_f32 v43, v63, s6, -v44
	v_add_f32_e32 v44, v46, v53
	v_sub_f32_e32 v46, v46, v53
	v_add_f32_e32 v53, v45, v58
	v_sub_f32_e32 v45, v45, v58
	v_mul_f32_e32 v58, 0xbf7e222b, v45
	v_fmac_f32_e32 v109, 0x3f62ad3f, v63
	v_fma_f32 v63, v44, s10, -v58
	v_add_f32_e32 v63, v63, v64
	v_mul_f32_e32 v64, 0xbf7e222b, v46
	v_fmac_f32_e32 v58, 0x3df6dbef, v44
	v_add_f32_e32 v43, v43, v84
	v_mov_b32_e32 v84, v64
	v_add_f32_e32 v58, v58, v62
	v_fma_f32 v62, v53, s10, -v64
	v_mul_f32_e32 v64, 0xbe750f2a, v45
	v_add_f32_e32 v62, v62, v65
	v_fma_f32 v65, v44, s15, -v64
	v_fmac_f32_e32 v84, 0x3df6dbef, v53
	v_add_f32_e32 v65, v65, v69
	v_mul_f32_e32 v69, 0xbe750f2a, v46
	v_fmac_f32_e32 v64, 0xbf788fa5, v44
	v_add_f32_e32 v67, v84, v67
	v_mov_b32_e32 v84, v69
	v_add_f32_e32 v64, v64, v68
	v_fma_f32 v68, v53, s15, -v69
	v_mul_f32_e32 v69, 0x3f6f5d39, v45
	v_add_f32_e32 v68, v68, v70
	v_fma_f32 v70, v44, s11, -v69
	v_fmac_f32_e32 v84, 0xbf788fa5, v53
	v_add_f32_e32 v70, v70, v73
	v_mul_f32_e32 v73, 0x3f6f5d39, v46
	v_add_f32_e32 v72, v84, v72
	v_mov_b32_e32 v84, v73
	v_fmac_f32_e32 v69, 0xbeb58ec6, v44
	v_fmac_f32_e32 v84, 0xbeb58ec6, v53
	v_add_f32_e32 v69, v69, v71
	v_fma_f32 v71, v53, s11, -v73
	v_mul_f32_e32 v73, 0x3eedf032, v45
	v_add_f32_e32 v74, v84, v74
	v_add_f32_e32 v71, v71, v75
	v_fma_f32 v75, v44, s6, -v73
	v_mul_f32_e32 v84, 0x3eedf032, v46
	v_add_f32_e32 v75, v75, v105
	v_mov_b32_e32 v105, v84
	v_fma_f32 v84, v53, s6, -v84
	v_fmac_f32_e32 v105, 0x3f62ad3f, v53
	v_fmac_f32_e32 v73, 0x3f62ad3f, v44
	v_add_f32_e32 v77, v84, v77
	v_mul_f32_e32 v84, 0xbf52af12, v45
	v_add_f32_e32 v107, v107, v110
	v_add_f32_e32 v76, v105, v76
	v_add_f32_e32 v73, v73, v104
	v_fma_f32 v104, v44, s7, -v84
	v_mul_f32_e32 v105, 0xbf52af12, v46
	v_add_f32_e32 v104, v104, v107
	v_mov_b32_e32 v107, v105
	v_fma_f32 v105, v53, s7, -v105
	v_mul_f32_e32 v45, 0xbf29c268, v45
	v_add_f32_e32 v79, v105, v79
	v_fma_f32 v105, v44, s14, -v45
	v_mul_f32_e32 v46, 0xbf29c268, v46
	v_fmac_f32_e32 v45, 0xbf3f9e67, v44
	v_add_f32_e32 v106, v106, v111
	v_fmac_f32_e32 v84, 0x3f116cb1, v44
	v_add_f32_e32 v5, v45, v5
	v_fma_f32 v44, v53, s14, -v46
	v_add_f32_e32 v45, v42, v50
	v_sub_f32_e32 v42, v42, v50
	v_add_f32_e32 v84, v84, v106
	v_mov_b32_e32 v106, v46
	v_add_f32_e32 v43, v44, v43
	v_add_f32_e32 v44, v40, v52
	v_sub_f32_e32 v40, v40, v52
	v_mul_f32_e32 v46, 0xbf6f5d39, v42
	v_fma_f32 v50, v44, s11, -v46
	v_mul_f32_e32 v52, 0xbf6f5d39, v40
	v_fmac_f32_e32 v46, 0xbeb58ec6, v44
	v_fmac_f32_e32 v107, 0x3f116cb1, v53
	;; [unrolled: 1-line block ×3, first 2 shown]
	v_mov_b32_e32 v53, v52
	v_add_f32_e32 v46, v46, v58
	v_fma_f32 v52, v45, s11, -v52
	v_mul_f32_e32 v58, 0x3f29c268, v42
	v_add_f32_e32 v50, v50, v63
	v_add_f32_e32 v52, v52, v62
	v_fma_f32 v62, v44, s14, -v58
	v_mul_f32_e32 v63, 0x3f29c268, v40
	v_fmac_f32_e32 v58, 0xbf3f9e67, v44
	v_fmac_f32_e32 v53, 0xbeb58ec6, v45
	v_add_f32_e32 v62, v62, v65
	v_mov_b32_e32 v65, v63
	v_add_f32_e32 v58, v58, v64
	v_fma_f32 v63, v45, s14, -v63
	v_mul_f32_e32 v64, 0x3eedf032, v42
	v_add_f32_e32 v53, v53, v67
	v_add_f32_e32 v63, v63, v68
	v_fma_f32 v67, v44, s6, -v64
	v_mul_f32_e32 v68, 0x3eedf032, v40
	v_fmac_f32_e32 v65, 0xbf3f9e67, v45
	v_add_f32_e32 v67, v67, v70
	v_mov_b32_e32 v70, v68
	v_add_f32_e32 v65, v65, v72
	v_fmac_f32_e32 v70, 0x3f62ad3f, v45
	v_mul_f32_e32 v72, 0xbf7e222b, v40
	v_add_f32_e32 v70, v70, v74
	v_mov_b32_e32 v74, v72
	v_fmac_f32_e32 v64, 0x3f62ad3f, v44
	v_fmac_f32_e32 v74, 0x3df6dbef, v45
	v_add_f32_e32 v64, v64, v69
	v_fma_f32 v68, v45, s6, -v68
	v_mul_f32_e32 v69, 0xbf7e222b, v42
	v_add_f32_e32 v74, v74, v76
	v_fma_f32 v72, v45, s10, -v72
	v_mul_f32_e32 v76, 0x3e750f2a, v40
	v_add_f32_e32 v68, v68, v71
	v_fma_f32 v71, v44, s10, -v69
	v_fmac_f32_e32 v69, 0x3df6dbef, v44
	v_add_f32_e32 v72, v72, v77
	v_mov_b32_e32 v77, v76
	v_add_f32_e32 v78, v107, v78
	v_add_f32_e32 v69, v69, v73
	v_mul_f32_e32 v73, 0x3e750f2a, v42
	v_fmac_f32_e32 v77, 0xbf788fa5, v45
	v_mul_f32_e32 v42, 0x3f52af12, v42
	v_add_f32_e32 v77, v77, v78
	v_fma_f32 v78, v44, s7, -v42
	v_fmac_f32_e32 v42, 0x3f116cb1, v44
	v_fma_f32 v76, v45, s15, -v76
	v_mul_f32_e32 v40, 0x3f52af12, v40
	v_add_f32_e32 v5, v42, v5
	v_add_f32_e32 v42, v37, v38
	v_sub_f32_e32 v37, v37, v38
	v_add_f32_e32 v38, v36, v39
	v_sub_f32_e32 v36, v36, v39
	v_add_f32_e32 v76, v76, v79
	v_mov_b32_e32 v79, v40
	v_fma_f32 v40, v45, s7, -v40
	v_mul_f32_e32 v39, 0xbf29c268, v36
	v_add_f32_e32 v71, v71, v75
	v_fma_f32 v75, v44, s15, -v73
	v_fmac_f32_e32 v73, 0xbf788fa5, v44
	v_add_f32_e32 v40, v40, v43
	v_fma_f32 v43, v42, s14, -v39
	v_mul_f32_e32 v44, 0xbf29c268, v37
	v_fmac_f32_e32 v39, 0xbf3f9e67, v42
	v_fmac_f32_e32 v79, 0x3f116cb1, v45
	v_mov_b32_e32 v45, v44
	v_add_f32_e32 v39, v39, v46
	v_fma_f32 v44, v38, s14, -v44
	v_mul_f32_e32 v46, 0x3f7e222b, v36
	v_add_f32_e32 v43, v43, v50
	v_add_f32_e32 v44, v44, v52
	v_fma_f32 v50, v42, s10, -v46
	v_mul_f32_e32 v52, 0x3f7e222b, v37
	v_fmac_f32_e32 v46, 0x3df6dbef, v42
	v_fmac_f32_e32 v45, 0xbf3f9e67, v38
	v_add_f32_e32 v58, v46, v58
	v_fma_f32 v46, v38, s10, -v52
	v_add_f32_e32 v45, v45, v53
	v_mov_b32_e32 v53, v52
	v_add_f32_e32 v52, v46, v63
	v_mul_f32_e32 v46, 0xbf52af12, v36
	v_add_f32_e32 v50, v50, v62
	v_fma_f32 v62, v42, s7, -v46
	v_mul_f32_e32 v63, 0xbf52af12, v37
	v_fmac_f32_e32 v46, 0x3f116cb1, v42
	v_fmac_f32_e32 v53, 0x3df6dbef, v38
	v_add_f32_e32 v64, v46, v64
	v_fma_f32 v46, v38, s7, -v63
	v_add_f32_e32 v53, v53, v65
	v_mov_b32_e32 v65, v63
	v_add_f32_e32 v63, v46, v68
	v_mul_f32_e32 v46, 0x3e750f2a, v36
	v_add_f32_e32 v62, v62, v67
	v_fma_f32 v67, v42, s15, -v46
	v_add_f32_e32 v68, v67, v71
	v_mul_f32_e32 v67, 0x3e750f2a, v37
	v_fmac_f32_e32 v46, 0xbf788fa5, v42
	v_fmac_f32_e32 v65, 0x3f116cb1, v38
	v_add_f32_e32 v69, v46, v69
	v_fma_f32 v46, v38, s15, -v67
	v_add_f32_e32 v65, v65, v70
	v_mov_b32_e32 v70, v67
	v_add_f32_e32 v72, v46, v72
	v_mul_f32_e32 v46, 0x3eedf032, v36
	v_add_f32_e32 v81, v109, v81
	v_add_f32_e32 v75, v75, v104
	v_fmac_f32_e32 v70, 0xbf788fa5, v38
	v_fma_f32 v67, v42, s6, -v46
	v_add_f32_e32 v81, v106, v81
	v_add_f32_e32 v73, v73, v84
	v_add_f32_e32 v70, v70, v74
	v_add_f32_e32 v74, v67, v75
	v_mul_f32_e32 v67, 0x3eedf032, v37
	v_fmac_f32_e32 v46, 0x3f62ad3f, v42
	v_add_f32_e32 v79, v79, v81
	v_add_f32_e32 v81, v46, v73
	v_fma_f32 v46, v38, s6, -v67
	v_mul_f32_e32 v36, 0xbf6f5d39, v36
	v_add_f32_e32 v108, v108, v112
	v_add_f32_e32 v84, v46, v76
	v_fma_f32 v46, v42, s11, -v36
	v_mul_f32_e32 v37, 0xbf6f5d39, v37
	v_fmac_f32_e32 v36, 0xbeb58ec6, v42
	v_add_f32_e32 v105, v105, v108
	v_add_f32_e32 v104, v36, v5
	v_fma_f32 v5, v38, s11, -v37
	v_add_f32_e32 v107, v26, v30
	v_sub_f32_e32 v26, v26, v30
	v_add_f32_e32 v78, v78, v105
	v_add_f32_e32 v40, v5, v40
	;; [unrolled: 1-line block ×3, first 2 shown]
	v_mul_f32_e32 v5, 0xbe750f2a, v26
	v_sub_f32_e32 v106, v25, v32
	v_fma_f32 v25, v105, s15, -v5
	v_add_f32_e32 v76, v25, v43
	v_mul_f32_e32 v25, 0xbe750f2a, v106
	v_add_f32_e32 v78, v46, v78
	v_mov_b32_e32 v46, v37
	v_mov_b32_e32 v30, v25
	v_fmac_f32_e32 v46, 0xbeb58ec6, v38
	v_fmac_f32_e32 v30, 0xbf788fa5, v107
	v_fma_f32 v25, v107, s15, -v25
	v_add_f32_e32 v79, v46, v79
	v_add_f32_e32 v46, v30, v45
	;; [unrolled: 1-line block ×3, first 2 shown]
	v_mul_f32_e32 v25, 0x3eedf032, v26
	v_fma_f32 v32, v105, s6, -v25
	v_add_f32_e32 v73, v32, v50
	v_mul_f32_e32 v32, 0x3eedf032, v106
	v_mov_b32_e32 v36, v32
	v_fmac_f32_e32 v36, 0x3f62ad3f, v107
	v_add_f32_e32 v44, v36, v53
	v_mul_f32_e32 v36, 0xbf29c268, v26
	v_fma_f32 v37, v105, s14, -v36
	v_mov_b32_e32 v71, v67
	v_add_f32_e32 v75, v37, v62
	v_mul_f32_e32 v37, 0xbf29c268, v106
	v_fmac_f32_e32 v71, 0x3f62ad3f, v38
	v_mov_b32_e32 v38, v37
	v_fmac_f32_e32 v36, 0xbf3f9e67, v105
	v_fmac_f32_e32 v38, 0xbf3f9e67, v107
	v_add_f32_e32 v67, v36, v64
	v_fma_f32 v36, v107, s14, -v37
	v_mul_f32_e32 v37, 0x3f52af12, v26
	v_add_f32_e32 v45, v38, v65
	v_fma_f32 v38, v105, s7, -v37
	v_add_f32_e32 v77, v71, v77
	v_fmac_f32_e32 v5, 0xbf788fa5, v105
	v_add_f32_e32 v71, v38, v68
	v_mul_f32_e32 v38, 0x3f52af12, v106
	v_add_f32_e32 v5, v5, v39
	v_mov_b32_e32 v39, v38
	v_fmac_f32_e32 v37, 0x3f116cb1, v105
	v_fmac_f32_e32 v39, 0x3f116cb1, v107
	v_add_f32_e32 v68, v37, v69
	v_fma_f32 v37, v107, s7, -v38
	v_mul_f32_e32 v38, 0xbf6f5d39, v26
	v_add_f32_e32 v42, v39, v70
	v_fma_f32 v39, v105, s11, -v38
	v_add_f32_e32 v74, v39, v74
	v_mul_f32_e32 v39, 0xbf6f5d39, v106
	v_fmac_f32_e32 v38, 0xbeb58ec6, v105
	v_mul_f32_e32 v26, 0x3f7e222b, v26
	v_mov_b32_e32 v43, v39
	v_add_f32_e32 v69, v38, v81
	v_fma_f32 v38, v107, s11, -v39
	v_fma_f32 v39, v105, s10, -v26
	v_mul_f32_e32 v50, 0x3f7e222b, v106
	v_fmac_f32_e32 v26, 0x3df6dbef, v105
	v_add_f32_e32 v37, v37, v72
	v_add_f32_e32 v72, v26, v104
	v_fma_f32 v26, v107, s10, -v50
	v_add_f32_e32 v40, v26, v40
	v_add_f32_e32 v26, v92, v22
	;; [unrolled: 1-line block ×22, first 2 shown]
	v_mov_b32_e32 v39, v50
	v_add_f32_e32 v34, v34, v28
	v_fmac_f32_e32 v39, 0x3df6dbef, v107
	v_add_f32_e32 v34, v34, v29
	v_add_f32_e32 v29, v22, v27
	v_sub_f32_e32 v22, v22, v27
	v_add_f32_e32 v27, v21, v28
	v_sub_f32_e32 v21, v21, v28
	v_add_f32_e32 v39, v39, v79
	v_mul_f32_e32 v79, 0x3f29c268, v21
	v_fma_f32 v81, v29, s14, -v79
	v_mul_f32_e32 v64, 0xbe750f2a, v21
	v_add_f32_e32 v81, v81, v83
	v_mul_f32_e32 v83, 0x3f29c268, v22
	v_fmac_f32_e32 v79, 0xbf3f9e67, v29
	v_add_f32_e32 v38, v38, v84
	v_fma_f32 v65, v29, s15, -v64
	v_fmac_f32_e32 v64, 0xbf788fa5, v29
	v_mov_b32_e32 v84, v83
	v_add_f32_e32 v79, v79, v82
	v_fma_f32 v82, v27, s14, -v83
	v_mul_f32_e32 v83, 0x3f7e222b, v21
	v_fmac_f32_e32 v25, 0x3f62ad3f, v105
	v_add_f32_e32 v64, v64, v86
	v_fma_f32 v86, v29, s10, -v83
	v_add_f32_e32 v25, v25, v58
	v_fma_f32 v32, v107, s6, -v32
	v_fmac_f32_e32 v43, 0xbeb58ec6, v107
	v_mul_f32_e32 v28, 0xbf52af12, v21
	v_mul_f32_e32 v58, 0xbf6f5d39, v21
	v_add_f32_e32 v80, v86, v80
	v_mul_f32_e32 v86, 0x3f7e222b, v22
	v_fmac_f32_e32 v83, 0x3df6dbef, v29
	v_mul_f32_e32 v21, 0x3eedf032, v21
	v_add_f32_e32 v32, v32, v52
	v_add_f32_e32 v43, v43, v77
	v_mul_f32_e32 v52, 0xbf52af12, v22
	v_mul_f32_e32 v62, 0xbf6f5d39, v22
	v_add_f32_e32 v65, v65, v87
	v_mul_f32_e32 v77, 0xbe750f2a, v22
	v_mov_b32_e32 v87, v86
	v_add_f32_e32 v66, v83, v66
	v_fma_f32 v83, v27, s10, -v86
	v_fma_f32 v86, v29, s6, -v21
	v_mul_f32_e32 v22, 0x3eedf032, v22
	v_add_f32_e32 v36, v36, v63
	v_mov_b32_e32 v53, v52
	v_mov_b32_e32 v63, v62
	;; [unrolled: 1-line block ×3, first 2 shown]
	v_add_f32_e32 v60, v86, v60
	v_mov_b32_e32 v86, v22
	v_fmac_f32_e32 v53, 0x3f116cb1, v27
	v_fma_f32 v52, v27, s7, -v52
	v_fmac_f32_e32 v63, 0xbeb58ec6, v27
	v_fma_f32 v62, v27, s11, -v62
	v_fmac_f32_e32 v78, 0xbf788fa5, v27
	v_fma_f32 v77, v27, s15, -v77
	v_fmac_f32_e32 v84, 0xbf3f9e67, v27
	v_fmac_f32_e32 v87, 0x3df6dbef, v27
	;; [unrolled: 1-line block ×3, first 2 shown]
	v_fma_f32 v22, v27, s6, -v22
	v_add_f32_e32 v27, v18, v23
	v_sub_f32_e32 v18, v18, v23
	v_add_f32_e32 v23, v17, v24
	v_sub_f32_e32 v17, v17, v24
	v_fma_f32 v50, v29, s7, -v28
	v_mul_f32_e32 v24, 0xbf7e222b, v17
	v_add_f32_e32 v50, v50, v91
	v_fmac_f32_e32 v28, 0x3f116cb1, v29
	v_fma_f32 v59, v29, s11, -v58
	v_fmac_f32_e32 v58, 0xbeb58ec6, v29
	v_fmac_f32_e32 v21, 0x3f62ad3f, v29
	v_fma_f32 v29, v27, s10, -v24
	v_add_f32_e32 v28, v28, v90
	v_add_f32_e32 v29, v29, v50
	v_mul_f32_e32 v50, 0xbf7e222b, v18
	v_fmac_f32_e32 v24, 0x3df6dbef, v27
	v_add_f32_e32 v52, v52, v94
	v_add_f32_e32 v22, v22, v61
	v_mov_b32_e32 v61, v50
	v_add_f32_e32 v24, v24, v28
	v_fma_f32 v28, v23, s10, -v50
	v_mul_f32_e32 v50, 0xbe750f2a, v17
	v_add_f32_e32 v59, v59, v89
	v_add_f32_e32 v28, v28, v52
	v_fma_f32 v52, v27, s15, -v50
	v_add_f32_e32 v53, v53, v93
	v_fmac_f32_e32 v61, 0x3df6dbef, v23
	v_add_f32_e32 v52, v52, v59
	v_mul_f32_e32 v59, 0xbe750f2a, v18
	v_add_f32_e32 v58, v58, v88
	v_add_f32_e32 v53, v61, v53
	v_mov_b32_e32 v61, v59
	v_fmac_f32_e32 v50, 0xbf788fa5, v27
	v_add_f32_e32 v63, v63, v95
	v_add_f32_e32 v62, v62, v96
	v_fmac_f32_e32 v61, 0xbf788fa5, v23
	v_add_f32_e32 v50, v50, v58
	v_fma_f32 v58, v23, s15, -v59
	v_mul_f32_e32 v59, 0x3f6f5d39, v17
	v_add_f32_e32 v61, v61, v63
	v_add_f32_e32 v58, v58, v62
	v_fma_f32 v62, v27, s11, -v59
	v_mul_f32_e32 v63, 0x3f6f5d39, v18
	v_add_f32_e32 v62, v62, v65
	v_mov_b32_e32 v65, v63
	v_fmac_f32_e32 v59, 0xbeb58ec6, v27
	v_add_f32_e32 v78, v78, v97
	v_add_f32_e32 v77, v77, v98
	v_fmac_f32_e32 v65, 0xbeb58ec6, v23
	v_add_f32_e32 v59, v59, v64
	v_fma_f32 v63, v23, s11, -v63
	v_mul_f32_e32 v64, 0x3eedf032, v17
	v_add_f32_e32 v65, v65, v78
	v_add_f32_e32 v63, v63, v77
	v_fma_f32 v77, v27, s6, -v64
	v_mul_f32_e32 v78, 0x3eedf032, v18
	v_fmac_f32_e32 v64, 0x3f62ad3f, v27
	v_add_f32_e32 v82, v82, v100
	v_add_f32_e32 v77, v77, v81
	v_mov_b32_e32 v81, v78
	v_add_f32_e32 v64, v64, v79
	v_fma_f32 v78, v23, s6, -v78
	v_mul_f32_e32 v79, 0xbf52af12, v17
	v_add_f32_e32 v78, v78, v82
	v_fma_f32 v82, v27, s7, -v79
	v_add_f32_e32 v84, v84, v99
	v_fmac_f32_e32 v81, 0x3f62ad3f, v23
	v_add_f32_e32 v80, v82, v80
	v_mul_f32_e32 v82, 0xbf52af12, v18
	v_fmac_f32_e32 v79, 0x3f116cb1, v27
	v_mul_f32_e32 v17, 0xbf29c268, v17
	v_add_f32_e32 v21, v21, v85
	v_add_f32_e32 v81, v81, v84
	v_mov_b32_e32 v84, v82
	v_add_f32_e32 v66, v79, v66
	v_fma_f32 v79, v23, s7, -v82
	v_fma_f32 v82, v27, s14, -v17
	v_fmac_f32_e32 v17, 0xbf3f9e67, v27
	v_mul_f32_e32 v18, 0xbf29c268, v18
	v_add_f32_e32 v17, v17, v21
	v_add_f32_e32 v21, v15, v19
	v_sub_f32_e32 v15, v15, v19
	v_add_f32_e32 v19, v16, v20
	v_sub_f32_e32 v16, v16, v20
	v_add_f32_e32 v60, v82, v60
	v_mov_b32_e32 v82, v18
	v_fma_f32 v18, v23, s14, -v18
	v_mul_f32_e32 v20, 0xbf6f5d39, v16
	v_fmac_f32_e32 v84, 0x3f116cb1, v23
	v_fmac_f32_e32 v82, 0xbf3f9e67, v23
	v_add_f32_e32 v18, v18, v22
	v_fma_f32 v22, v21, s11, -v20
	v_mul_f32_e32 v23, 0xbf6f5d39, v15
	v_fmac_f32_e32 v20, 0xbeb58ec6, v21
	v_mov_b32_e32 v27, v23
	v_add_f32_e32 v20, v20, v24
	v_fma_f32 v23, v19, s11, -v23
	v_mul_f32_e32 v24, 0x3f29c268, v16
	v_add_f32_e32 v22, v22, v29
	v_add_f32_e32 v23, v23, v28
	v_fma_f32 v28, v21, s14, -v24
	v_mul_f32_e32 v29, 0x3f29c268, v15
	v_fmac_f32_e32 v24, 0xbf3f9e67, v21
	v_fmac_f32_e32 v27, 0xbeb58ec6, v19
	v_add_f32_e32 v28, v28, v52
	v_mov_b32_e32 v52, v29
	v_add_f32_e32 v24, v24, v50
	v_fma_f32 v29, v19, s14, -v29
	v_mul_f32_e32 v50, 0x3eedf032, v16
	v_add_f32_e32 v27, v27, v53
	v_fmac_f32_e32 v52, 0xbf3f9e67, v19
	v_add_f32_e32 v29, v29, v58
	v_fma_f32 v53, v21, s6, -v50
	v_mul_f32_e32 v58, 0x3eedf032, v15
	v_fmac_f32_e32 v50, 0x3f62ad3f, v21
	v_add_f32_e32 v52, v52, v61
	v_mov_b32_e32 v61, v58
	v_add_f32_e32 v50, v50, v59
	v_fma_f32 v58, v19, s6, -v58
	v_mul_f32_e32 v59, 0xbf7e222b, v16
	v_add_f32_e32 v53, v53, v62
	v_fmac_f32_e32 v61, 0x3f62ad3f, v19
	v_add_f32_e32 v58, v58, v63
	v_fma_f32 v62, v21, s10, -v59
	v_mul_f32_e32 v63, 0xbf7e222b, v15
	v_fmac_f32_e32 v59, 0x3df6dbef, v21
	v_add_f32_e32 v61, v61, v65
	v_mov_b32_e32 v65, v63
	v_add_f32_e32 v59, v59, v64
	v_fma_f32 v63, v19, s10, -v63
	v_mul_f32_e32 v64, 0x3e750f2a, v16
	v_add_f32_e32 v62, v62, v77
	v_add_f32_e32 v63, v63, v78
	v_fma_f32 v77, v21, s15, -v64
	v_mul_f32_e32 v78, 0x3e750f2a, v15
	v_fmac_f32_e32 v64, 0xbf788fa5, v21
	v_mul_f32_e32 v16, 0x3f52af12, v16
	v_add_f32_e32 v77, v77, v80
	v_mov_b32_e32 v80, v78
	v_add_f32_e32 v64, v64, v66
	v_fma_f32 v66, v19, s15, -v78
	v_fma_f32 v78, v21, s7, -v16
	v_mul_f32_e32 v15, 0x3f52af12, v15
	v_fmac_f32_e32 v16, 0x3f116cb1, v21
	v_add_f32_e32 v60, v78, v60
	v_mov_b32_e32 v78, v15
	v_add_f32_e32 v16, v16, v17
	v_add_f32_e32 v17, v12, v13
	v_sub_f32_e32 v12, v12, v13
	v_add_f32_e32 v13, v11, v14
	v_sub_f32_e32 v11, v11, v14
	v_fmac_f32_e32 v65, 0x3df6dbef, v19
	v_fmac_f32_e32 v80, 0xbf788fa5, v19
	;; [unrolled: 1-line block ×3, first 2 shown]
	v_fma_f32 v15, v19, s7, -v15
	v_mul_f32_e32 v14, 0xbf29c268, v11
	v_mul_f32_e32 v19, 0xbf29c268, v12
	v_add_f32_e32 v15, v15, v18
	v_fma_f32 v18, v17, s14, -v14
	v_mov_b32_e32 v21, v19
	v_fmac_f32_e32 v14, 0xbf3f9e67, v17
	v_fma_f32 v19, v13, s14, -v19
	v_fmac_f32_e32 v21, 0xbf3f9e67, v13
	v_add_f32_e32 v14, v14, v20
	v_add_f32_e32 v19, v19, v23
	v_mul_f32_e32 v20, 0x3f7e222b, v11
	v_mul_f32_e32 v23, 0x3f7e222b, v12
	v_add_f32_e32 v18, v18, v22
	v_add_f32_e32 v21, v21, v27
	v_fma_f32 v22, v17, s10, -v20
	v_mov_b32_e32 v27, v23
	v_fmac_f32_e32 v20, 0x3df6dbef, v17
	v_fma_f32 v23, v13, s10, -v23
	v_fmac_f32_e32 v27, 0x3df6dbef, v13
	v_add_f32_e32 v20, v20, v24
	v_add_f32_e32 v23, v23, v29
	v_mul_f32_e32 v24, 0xbf52af12, v11
	v_mul_f32_e32 v29, 0xbf52af12, v12
	v_add_f32_e32 v22, v22, v28
	v_add_f32_e32 v27, v27, v52
	v_fma_f32 v28, v17, s7, -v24
	v_mov_b32_e32 v52, v29
	v_fmac_f32_e32 v24, 0x3f116cb1, v17
	v_fmac_f32_e32 v52, 0x3f116cb1, v13
	v_add_f32_e32 v24, v24, v50
	v_mul_f32_e32 v50, 0x3e750f2a, v11
	v_add_f32_e32 v83, v83, v102
	v_add_f32_e32 v61, v52, v61
	v_fma_f32 v52, v17, s15, -v50
	v_add_f32_e32 v79, v79, v83
	v_add_f32_e32 v62, v52, v62
	v_mul_f32_e32 v52, 0x3e750f2a, v12
	v_fmac_f32_e32 v50, 0xbf788fa5, v17
	v_add_f32_e32 v66, v66, v79
	v_add_f32_e32 v79, v50, v59
	v_fma_f32 v50, v13, s15, -v52
	v_add_f32_e32 v63, v50, v63
	v_mul_f32_e32 v50, 0x3eedf032, v11
	v_add_f32_e32 v28, v28, v53
	v_mov_b32_e32 v53, v52
	v_fma_f32 v52, v17, s6, -v50
	v_add_f32_e32 v77, v52, v77
	v_mul_f32_e32 v52, 0x3eedf032, v12
	v_fmac_f32_e32 v50, 0x3f62ad3f, v17
	v_add_f32_e32 v86, v86, v103
	v_add_f32_e32 v64, v50, v64
	v_fma_f32 v50, v13, s6, -v52
	v_mul_f32_e32 v11, 0xbf6f5d39, v11
	v_add_f32_e32 v87, v87, v101
	v_add_f32_e32 v82, v82, v86
	;; [unrolled: 1-line block ×3, first 2 shown]
	v_fma_f32 v50, v17, s11, -v11
	v_mul_f32_e32 v12, 0xbf6f5d39, v12
	v_fmac_f32_e32 v11, 0xbeb58ec6, v17
	v_add_f32_e32 v84, v84, v87
	v_add_f32_e32 v65, v65, v81
	;; [unrolled: 1-line block ×4, first 2 shown]
	v_mov_b32_e32 v50, v12
	v_add_f32_e32 v82, v11, v16
	v_fma_f32 v11, v13, s11, -v12
	v_sub_f32_e32 v12, v8, v10
	v_add_f32_e32 v80, v80, v84
	v_add_f32_e32 v84, v7, v9
	v_sub_f32_e32 v86, v7, v9
	v_mul_f32_e32 v7, 0xbe750f2a, v12
	v_add_f32_e32 v85, v8, v10
	v_fma_f32 v8, v84, s15, -v7
	v_add_f32_e32 v18, v8, v18
	v_mul_f32_e32 v8, 0xbe750f2a, v86
	v_fmac_f32_e32 v50, 0xbeb58ec6, v13
	v_mov_b32_e32 v9, v8
	v_fma_f32 v8, v85, s15, -v8
	v_fmac_f32_e32 v53, 0xbf788fa5, v13
	v_add_f32_e32 v78, v50, v78
	v_fmac_f32_e32 v9, 0xbf788fa5, v85
	v_add_f32_e32 v50, v8, v19
	v_mul_f32_e32 v8, 0x3eedf032, v12
	v_add_f32_e32 v65, v53, v65
	v_mov_b32_e32 v53, v52
	v_add_f32_e32 v52, v9, v21
	v_fma_f32 v9, v84, s6, -v8
	v_add_f32_e32 v83, v11, v15
	v_add_f32_e32 v15, v9, v22
	v_mul_f32_e32 v9, 0x3eedf032, v86
	v_fma_f32 v29, v13, s7, -v29
	v_mov_b32_e32 v10, v9
	v_fma_f32 v9, v85, s6, -v9
	v_add_f32_e32 v29, v29, v58
	v_fmac_f32_e32 v53, 0x3f62ad3f, v13
	v_fmac_f32_e32 v10, 0x3f62ad3f, v85
	v_add_f32_e32 v58, v9, v23
	v_mul_f32_e32 v9, 0xbf29c268, v12
	v_add_f32_e32 v80, v53, v80
	v_add_f32_e32 v53, v10, v27
	v_fma_f32 v10, v84, s14, -v9
	v_add_f32_e32 v17, v10, v28
	v_mul_f32_e32 v10, 0xbf29c268, v86
	v_mov_b32_e32 v11, v10
	v_fma_f32 v10, v85, s14, -v10
	v_fmac_f32_e32 v11, 0xbf3f9e67, v85
	v_add_f32_e32 v60, v10, v29
	v_mul_f32_e32 v10, 0x3f52af12, v12
	v_add_f32_e32 v59, v11, v61
	v_fma_f32 v11, v84, s7, -v10
	v_fmac_f32_e32 v7, 0xbf788fa5, v84
	v_add_f32_e32 v13, v11, v62
	v_mul_f32_e32 v11, 0x3f52af12, v86
	v_add_f32_e32 v7, v7, v14
	v_mov_b32_e32 v14, v11
	v_fma_f32 v11, v85, s7, -v11
	v_fmac_f32_e32 v14, 0x3f116cb1, v85
	v_add_f32_e32 v62, v11, v63
	v_mul_f32_e32 v11, 0xbf6f5d39, v12
	v_add_f32_e32 v61, v14, v65
	v_fma_f32 v14, v84, s11, -v11
	v_add_f32_e32 v16, v14, v77
	v_mul_f32_e32 v14, 0xbf6f5d39, v86
	v_mov_b32_e32 v19, v14
	v_fmac_f32_e32 v19, 0xbeb58ec6, v85
	v_fmac_f32_e32 v8, 0x3f62ad3f, v84
	v_add_f32_e32 v63, v19, v80
	v_mul_f32_e32 v19, 0x3f7e222b, v86
	v_add_f32_e32 v8, v8, v20
	v_fmac_f32_e32 v11, 0xbeb58ec6, v84
	v_fma_f32 v14, v85, s11, -v14
	v_mov_b32_e32 v20, v19
	v_fma_f32 v19, v85, s10, -v19
	v_add_f32_e32 v11, v11, v64
	v_add_f32_e32 v64, v14, v66
	;; [unrolled: 1-line block ×3, first 2 shown]
	v_lshrrev_b32_e32 v19, 1, v0
	v_mul_u32_u24_e32 v19, 26, v19
	v_or_b32_e32 v19, v19, v6
	v_lshl_add_u32 v77, v19, 2, 0
	s_waitcnt lgkmcnt(0)
	; wave barrier
	ds_write2_b32 v77, v4, v76 offset1:2
	ds_write2_b32 v77, v73, v75 offset0:4 offset1:6
	ds_write2_b32 v77, v71, v74 offset0:8 offset1:10
	;; [unrolled: 1-line block ×5, first 2 shown]
	ds_write_b32 v77, v5 offset:96
	v_lshrrev_b32_e32 v4, 1, v35
	v_mul_f32_e32 v14, 0x3f7e222b, v12
	v_mul_u32_u24_e32 v4, 26, v4
	v_fmac_f32_e32 v9, 0xbf3f9e67, v84
	v_fmac_f32_e32 v10, 0x3f116cb1, v84
	v_fma_f32 v12, v84, s10, -v14
	v_fmac_f32_e32 v14, 0x3df6dbef, v84
	v_or_b32_e32 v4, v4, v6
	v_add_f32_e32 v9, v9, v24
	v_add_f32_e32 v10, v10, v79
	;; [unrolled: 1-line block ×3, first 2 shown]
	v_fmac_f32_e32 v20, 0x3df6dbef, v85
	v_add_f32_e32 v14, v14, v82
	v_lshl_add_u32 v67, v4, 2, 0
	v_add_f32_e32 v65, v20, v78
	ds_write2_b32 v67, v26, v18 offset1:2
	ds_write2_b32 v67, v15, v17 offset0:4 offset1:6
	ds_write2_b32 v67, v13, v16 offset0:8 offset1:10
	;; [unrolled: 1-line block ×5, first 2 shown]
	ds_write_b32 v67, v7 offset:96
	s_waitcnt lgkmcnt(0)
	; wave barrier
	s_waitcnt lgkmcnt(0)
	ds_read2_b32 v[4:5], v56 offset1:52
	ds_read2_b32 v[28:29], v56 offset0:104 offset1:156
	ds_read2_b32 v[26:27], v47 offset0:80 offset1:132
	;; [unrolled: 1-line block ×12, first 2 shown]
	s_waitcnt lgkmcnt(0)
	; wave barrier
	s_waitcnt lgkmcnt(0)
	ds_write2_b32 v77, v48, v46 offset1:2
	ds_write2_b32 v77, v44, v45 offset0:4 offset1:6
	ds_write2_b32 v77, v42, v43 offset0:8 offset1:10
	;; [unrolled: 1-line block ×5, first 2 shown]
	ds_write_b32 v77, v30 offset:96
	ds_write2_b32 v67, v34, v52 offset1:2
	ds_write2_b32 v67, v53, v59 offset0:4 offset1:6
	ds_write2_b32 v67, v61, v63 offset0:8 offset1:10
	;; [unrolled: 1-line block ×5, first 2 shown]
	ds_write_b32 v67, v50 offset:96
	v_subrev_u32_e32 v58, 26, v0
	v_cndmask_b32_e64 v89, v58, v0, s[2:3]
	v_mul_i32_i24_e32 v36, 12, v89
	v_mov_b32_e32 v37, 0
	v_lshlrev_b64 v[36:37], 3, v[36:37]
	v_mov_b32_e32 v30, s9
	v_add_co_u32_e32 v52, vcc, s8, v36
	v_addc_co_u32_e32 v53, vcc, v30, v37, vcc
	s_waitcnt lgkmcnt(0)
	; wave barrier
	s_waitcnt lgkmcnt(0)
	global_load_dwordx4 v[36:39], v[52:53], off offset:192
	global_load_dwordx4 v[42:45], v[52:53], off offset:208
	;; [unrolled: 1-line block ×3, first 2 shown]
	v_mul_lo_u16_sdwa v30, v35, s4 dst_sel:DWORD dst_unused:UNUSED_PAD src0_sel:BYTE_0 src1_sel:DWORD
	v_lshrrev_b16_e32 v87, 11, v30
	v_mul_lo_u16_e32 v30, 26, v87
	v_sub_u16_e32 v88, v35, v30
	v_mov_b32_e32 v30, 12
	v_mul_u32_u24_sdwa v30, v88, v30 dst_sel:DWORD dst_unused:UNUSED_PAD src0_sel:BYTE_0 src1_sel:DWORD
	v_lshlrev_b32_e32 v30, 3, v30
	global_load_dwordx4 v[81:84], v30, s[8:9] offset:192
	global_load_dwordx4 v[90:93], v30, s[8:9] offset:208
	;; [unrolled: 1-line block ×3, first 2 shown]
	global_load_dwordx4 v[98:101], v[52:53], off offset:240
	global_load_dwordx4 v[102:105], v30, s[8:9] offset:240
	global_load_dwordx4 v[106:109], v[52:53], off offset:256
	ds_read2_b32 v[34:35], v56 offset0:104 offset1:156
	ds_read2_b32 v[63:64], v47 offset0:80 offset1:132
	;; [unrolled: 1-line block ×5, first 2 shown]
	global_load_dwordx4 v[110:113], v30, s[8:9] offset:256
	global_load_dwordx4 v[118:121], v30, s[8:9] offset:272
	global_load_dwordx4 v[114:117], v[52:53], off offset:272
	ds_read2_b32 v[85:86], v49 offset0:112 offset1:164
	v_cmp_lt_u32_e32 vcc, 25, v0
	v_mul_u32_u24_e32 v87, 0x548, v87
	s_waitcnt vmcnt(11) lgkmcnt(5)
	v_mul_f32_e32 v32, v34, v37
	v_fma_f32 v79, v28, v36, -v32
	v_mul_f32_e32 v80, v28, v37
	s_waitcnt lgkmcnt(4)
	v_mul_f32_e32 v28, v63, v39
	v_fma_f32 v75, v26, v38, -v28
	v_mul_f32_e32 v76, v26, v39
	s_waitcnt vmcnt(10) lgkmcnt(3)
	v_mul_f32_e32 v26, v66, v43
	v_fma_f32 v73, v24, v42, -v26
	v_mul_f32_e32 v74, v24, v43
	s_waitcnt lgkmcnt(2)
	v_mul_f32_e32 v24, v71, v45
	v_fma_f32 v69, v22, v44, -v24
	v_mul_f32_e32 v70, v22, v45
	s_waitcnt vmcnt(9) lgkmcnt(1)
	v_mul_f32_e32 v22, v77, v60
	v_fmac_f32_e32 v74, v66, v42
	v_fma_f32 v65, v20, v59, -v22
	v_mul_f32_e32 v66, v20, v60
	s_waitcnt lgkmcnt(0)
	v_mul_f32_e32 v20, v85, v62
	v_fma_f32 v60, v18, v61, -v20
	v_mul_f32_e32 v62, v18, v62
	s_waitcnt vmcnt(8)
	v_mul_f32_e32 v18, v35, v82
	v_fma_f32 v53, v29, v81, -v18
	v_mul_f32_e32 v18, v64, v84
	v_fma_f32 v46, v27, v83, -v18
	s_waitcnt vmcnt(7)
	v_mul_f32_e32 v18, v67, v91
	v_fma_f32 v42, v25, v90, -v18
	v_mul_f32_e32 v18, v72, v93
	v_fmac_f32_e32 v66, v77, v59
	v_mul_f32_e32 v59, v29, v82
	v_fma_f32 v39, v23, v92, -v18
	s_waitcnt vmcnt(6)
	v_mul_f32_e32 v18, v78, v95
	v_fmac_f32_e32 v80, v34, v36
	v_fmac_f32_e32 v59, v35, v81
	v_fma_f32 v35, v21, v94, -v18
	v_mul_f32_e32 v36, v21, v95
	v_mul_f32_e32 v18, v86, v97
	ds_read2_b32 v[20:21], v33 offset0:88 offset1:140
	v_fma_f32 v30, v19, v96, -v18
	v_mul_f32_e32 v32, v19, v97
	ds_read2_b32 v[18:19], v51 offset0:64 offset1:116
	v_mul_f32_e32 v48, v27, v84
	s_waitcnt vmcnt(5) lgkmcnt(1)
	v_mul_f32_e32 v22, v20, v99
	v_fmac_f32_e32 v76, v63, v38
	v_fmac_f32_e32 v48, v64, v83
	v_mul_f32_e32 v40, v23, v93
	v_fma_f32 v63, v16, v98, -v22
	v_mul_f32_e32 v64, v16, v99
	s_waitcnt lgkmcnt(0)
	v_mul_f32_e32 v16, v18, v101
	v_fmac_f32_e32 v70, v71, v44
	v_fmac_f32_e32 v40, v72, v92
	v_fma_f32 v71, v14, v100, -v16
	v_mul_f32_e32 v72, v14, v101
	s_waitcnt vmcnt(4)
	v_mul_f32_e32 v14, v21, v103
	v_fma_f32 v33, v17, v102, -v14
	v_mul_f32_e32 v34, v17, v103
	v_mul_f32_e32 v14, v19, v105
	ds_read2_b32 v[16:17], v51 offset0:168 offset1:220
	v_fma_f32 v37, v15, v104, -v14
	v_mul_f32_e32 v38, v15, v105
	ds_read2_b32 v[14:15], v57 offset0:16 offset1:68
	v_fmac_f32_e32 v72, v18, v100
	s_waitcnt vmcnt(3) lgkmcnt(1)
	v_mul_f32_e32 v18, v16, v107
	v_fmac_f32_e32 v36, v78, v94
	v_fma_f32 v77, v12, v106, -v18
	v_mul_f32_e32 v78, v12, v107
	s_waitcnt lgkmcnt(0)
	v_mul_f32_e32 v12, v14, v109
	v_fma_f32 v81, v10, v108, -v12
	v_mul_f32_e32 v82, v10, v109
	s_waitcnt vmcnt(2)
	v_mul_f32_e32 v10, v17, v111
	v_fma_f32 v44, v13, v110, -v10
	v_mul_f32_e32 v45, v13, v111
	v_mul_f32_e32 v10, v15, v113
	ds_read2_b32 v[12:13], v57 offset0:120 offset1:172
	v_fma_f32 v50, v11, v112, -v10
	v_mul_f32_e32 v52, v11, v113
	ds_read2_b32 v[10:11], v31 offset0:96 offset1:148
	v_fmac_f32_e32 v32, v86, v96
	v_fmac_f32_e32 v82, v14, v108
	s_waitcnt vmcnt(0) lgkmcnt(1)
	v_mul_f32_e32 v14, v12, v115
	v_mul_f32_e32 v86, v6, v117
	v_fma_f32 v83, v8, v114, -v14
	v_mul_f32_e32 v84, v8, v115
	s_waitcnt lgkmcnt(0)
	v_mul_f32_e32 v8, v10, v117
	v_fmac_f32_e32 v86, v10, v116
	v_fmac_f32_e32 v62, v85, v61
	;; [unrolled: 1-line block ×3, first 2 shown]
	v_fma_f32 v85, v6, v116, -v8
	v_mul_f32_e32 v6, v13, v119
	v_sub_f32_e32 v12, v80, v86
	v_mul_f32_e32 v43, v25, v91
	v_fmac_f32_e32 v52, v15, v112
	v_fma_f32 v31, v9, v118, -v6
	v_mul_f32_e32 v61, v9, v119
	v_mul_f32_e32 v6, v11, v121
	;; [unrolled: 1-line block ×3, first 2 shown]
	v_add_f32_e32 v8, v79, v85
	v_mul_f32_e32 v9, 0xbeedf032, v12
	v_sub_f32_e32 v15, v76, v84
	v_fmac_f32_e32 v43, v67, v90
	v_fmac_f32_e32 v78, v16, v106
	v_fma_f32 v67, v7, v120, -v6
	v_fmac_f32_e32 v68, v11, v120
	v_fma_f32 v6, v8, s6, -v9
	v_add_f32_e32 v10, v75, v83
	v_mul_f32_e32 v11, 0xbf52af12, v15
	v_sub_f32_e32 v18, v74, v82
	v_fmac_f32_e32 v34, v21, v102
	v_fmac_f32_e32 v61, v13, v118
	v_add_f32_e32 v6, v4, v6
	v_fma_f32 v7, v10, s7, -v11
	v_add_f32_e32 v13, v73, v81
	v_mul_f32_e32 v14, 0xbf7e222b, v18
	v_sub_f32_e32 v21, v70, v78
	v_fmac_f32_e32 v64, v20, v98
	v_fmac_f32_e32 v45, v17, v110
	v_add_f32_e32 v6, v7, v6
	v_fma_f32 v7, v13, s10, -v14
	v_add_f32_e32 v16, v69, v77
	v_mul_f32_e32 v17, 0xbf6f5d39, v21
	v_sub_f32_e32 v24, v66, v72
	v_fmac_f32_e32 v38, v19, v104
	v_add_f32_e32 v6, v7, v6
	v_fma_f32 v7, v16, s11, -v17
	v_add_f32_e32 v19, v65, v71
	v_mul_f32_e32 v20, 0xbf29c268, v24
	v_sub_f32_e32 v25, v62, v64
	v_add_f32_e32 v6, v7, v6
	v_fma_f32 v7, v19, s14, -v20
	v_add_f32_e32 v22, v60, v63
	v_mul_f32_e32 v23, 0xbe750f2a, v25
	v_add_f32_e32 v6, v7, v6
	v_fma_f32 v7, v22, s15, -v23
	v_add_f32_e32 v26, v7, v6
	v_mov_b32_e32 v6, 0x548
	v_cndmask_b32_e32 v6, 0, v6, vcc
	v_lshlrev_b32_e32 v7, 2, v89
	v_add3_u32 v89, 0, v6, v7
	v_add_f32_e32 v6, v4, v79
	v_add_f32_e32 v6, v6, v75
	;; [unrolled: 1-line block ×12, first 2 shown]
	ds_read2_b32 v[6:7], v56 offset1:52
	s_waitcnt lgkmcnt(0)
	; wave barrier
	s_waitcnt lgkmcnt(0)
	ds_write2_b32 v89, v27, v26 offset1:26
	v_mul_f32_e32 v26, 0xbf52af12, v12
	v_fma_f32 v27, v8, s7, -v26
	v_mul_f32_e32 v28, 0xbf6f5d39, v15
	v_add_f32_e32 v27, v4, v27
	v_fma_f32 v29, v10, s11, -v28
	v_add_f32_e32 v27, v29, v27
	v_mul_f32_e32 v29, 0xbf7e222b, v12
	v_fma_f32 v90, v8, s10, -v29
	v_mul_f32_e32 v91, 0xbe750f2a, v15
	v_add_f32_e32 v90, v4, v90
	v_fma_f32 v92, v10, s15, -v91
	v_add_f32_e32 v90, v92, v90
	v_mul_f32_e32 v92, 0xbe750f2a, v18
	v_fma_f32 v93, v13, s15, -v92
	v_add_f32_e32 v27, v93, v27
	v_mul_f32_e32 v93, 0x3f6f5d39, v18
	;; [unrolled: 3-line block ×8, first 2 shown]
	v_fma_f32 v100, v22, s14, -v99
	v_add_f32_e32 v90, v100, v90
	ds_write2_b32 v89, v27, v90 offset0:52 offset1:78
	v_mul_f32_e32 v27, 0xbf6f5d39, v12
	v_fma_f32 v90, v8, s11, -v27
	v_mul_f32_e32 v100, 0x3f29c268, v15
	v_add_f32_e32 v90, v4, v90
	v_fma_f32 v101, v10, s14, -v100
	v_add_f32_e32 v90, v101, v90
	v_mul_f32_e32 v101, 0xbf29c268, v12
	v_fma_f32 v102, v8, s14, -v101
	v_mul_f32_e32 v103, 0x3f7e222b, v15
	v_add_f32_e32 v102, v4, v102
	v_fma_f32 v104, v10, s10, -v103
	v_add_f32_e32 v102, v104, v102
	v_mul_f32_e32 v104, 0x3eedf032, v18
	v_fma_f32 v105, v13, s6, -v104
	v_add_f32_e32 v90, v105, v90
	v_mul_f32_e32 v105, 0xbf52af12, v18
	;; [unrolled: 3-line block ×9, first 2 shown]
	ds_write2_b32 v89, v90, v102 offset0:104 offset1:130
	v_fma_f32 v90, v8, s15, -v12
	v_mul_f32_e32 v15, 0x3eedf032, v15
	v_fmac_f32_e32 v12, 0xbf788fa5, v8
	v_fma_f32 v102, v10, s6, -v15
	v_add_f32_e32 v12, v4, v12
	v_fmac_f32_e32 v15, 0x3f62ad3f, v10
	v_add_f32_e32 v12, v15, v12
	v_mul_f32_e32 v15, 0xbf29c268, v18
	v_fma_f32 v18, v13, s14, -v15
	v_fmac_f32_e32 v15, 0xbf3f9e67, v13
	v_add_f32_e32 v90, v4, v90
	v_add_f32_e32 v12, v15, v12
	v_mul_f32_e32 v15, 0x3f52af12, v21
	v_add_f32_e32 v90, v102, v90
	v_fma_f32 v21, v16, s7, -v15
	v_fmac_f32_e32 v15, 0x3f116cb1, v16
	v_add_f32_e32 v18, v18, v90
	v_add_f32_e32 v12, v15, v12
	v_mul_f32_e32 v15, 0xbf6f5d39, v24
	v_add_f32_e32 v18, v21, v18
	v_fma_f32 v21, v19, s11, -v15
	v_fmac_f32_e32 v15, 0xbeb58ec6, v19
	v_add_f32_e32 v12, v15, v12
	v_mul_f32_e32 v15, 0x3f7e222b, v25
	v_add_f32_e32 v18, v21, v18
	v_fma_f32 v21, v22, s10, -v15
	v_fmac_f32_e32 v15, 0x3df6dbef, v22
	v_fmac_f32_e32 v9, 0x3f62ad3f, v8
	v_add_f32_e32 v18, v21, v18
	v_add_f32_e32 v12, v15, v12
	v_fmac_f32_e32 v26, 0x3f116cb1, v8
	v_fmac_f32_e32 v29, 0x3df6dbef, v8
	;; [unrolled: 1-line block ×4, first 2 shown]
	v_add_f32_e32 v8, v4, v9
	v_fmac_f32_e32 v11, 0x3f116cb1, v10
	ds_write2_b32 v89, v18, v12 offset0:156 offset1:182
	v_add_f32_e32 v8, v11, v8
	v_add_f32_e32 v9, v4, v26
	;; [unrolled: 1-line block ×3, first 2 shown]
	v_fmac_f32_e32 v91, 0xbf788fa5, v10
	v_add_f32_e32 v12, v4, v27
	v_fmac_f32_e32 v100, 0xbf3f9e67, v10
	v_fmac_f32_e32 v103, 0x3df6dbef, v10
	v_add_f32_e32 v4, v4, v101
	v_fmac_f32_e32 v28, 0xbeb58ec6, v10
	v_add_f32_e32 v11, v91, v11
	v_add_f32_e32 v12, v100, v12
	;; [unrolled: 1-line block ×3, first 2 shown]
	v_fmac_f32_e32 v93, 0xbeb58ec6, v13
	v_fmac_f32_e32 v104, 0x3f62ad3f, v13
	;; [unrolled: 1-line block ×3, first 2 shown]
	v_add_f32_e32 v9, v28, v9
	v_fmac_f32_e32 v92, 0xbf788fa5, v13
	v_add_f32_e32 v10, v93, v11
	v_add_f32_e32 v11, v104, v12
	;; [unrolled: 1-line block ×3, first 2 shown]
	v_fmac_f32_e32 v106, 0x3df6dbef, v16
	v_fmac_f32_e32 v107, 0xbf788fa5, v16
	v_add_f32_e32 v9, v92, v9
	v_fmac_f32_e32 v94, 0xbf3f9e67, v16
	v_fmac_f32_e32 v95, 0x3f62ad3f, v16
	v_add_f32_e32 v11, v106, v11
	v_add_f32_e32 v4, v107, v4
	v_fmac_f32_e32 v108, 0xbf788fa5, v19
	v_fmac_f32_e32 v109, 0x3f62ad3f, v19
	v_add_f32_e32 v9, v94, v9
	;; [unrolled: 4-line block ×3, first 2 shown]
	v_add_f32_e32 v4, v109, v4
	v_fmac_f32_e32 v110, 0x3f116cb1, v22
	v_fmac_f32_e32 v111, 0xbeb58ec6, v22
	;; [unrolled: 1-line block ×3, first 2 shown]
	v_add_f32_e32 v9, v96, v9
	v_add_f32_e32 v10, v97, v10
	v_fmac_f32_e32 v98, 0x3f62ad3f, v22
	v_fmac_f32_e32 v99, 0xbf3f9e67, v22
	v_add_f32_e32 v11, v110, v11
	v_add_f32_e32 v4, v111, v4
	;; [unrolled: 1-line block ×3, first 2 shown]
	v_fmac_f32_e32 v17, 0xbeb58ec6, v16
	v_add_f32_e32 v9, v98, v9
	v_add_f32_e32 v10, v99, v10
	ds_write2_b32 v89, v4, v11 offset0:208 offset1:234
	v_sub_f32_e32 v4, v59, v68
	v_add_u32_e32 v92, 0x400, v89
	v_add_f32_e32 v8, v17, v8
	v_fmac_f32_e32 v20, 0xbf3f9e67, v19
	v_add_f32_e32 v12, v53, v67
	ds_write2_b32 v92, v10, v9 offset0:4 offset1:30
	v_mul_f32_e32 v9, 0xbeedf032, v4
	v_mul_f32_e32 v11, 0xbf52af12, v4
	;; [unrolled: 1-line block ×6, first 2 shown]
	v_add_f32_e32 v8, v20, v8
	v_fma_f32 v10, v12, s6, -v9
	v_fmac_f32_e32 v9, 0x3f62ad3f, v12
	v_fma_f32 v13, v12, s7, -v11
	v_fmac_f32_e32 v11, 0x3f116cb1, v12
	;; [unrolled: 2-line block ×6, first 2 shown]
	v_add_f32_e32 v10, v5, v10
	v_add_f32_e32 v9, v5, v9
	;; [unrolled: 1-line block ×13, first 2 shown]
	v_sub_f32_e32 v21, v48, v61
	v_add_f32_e32 v5, v5, v46
	v_fmac_f32_e32 v23, 0xbf788fa5, v22
	v_add_f32_e32 v20, v46, v31
	v_mul_f32_e32 v22, 0xbf52af12, v21
	v_add_f32_e32 v5, v5, v42
	v_add_f32_e32 v8, v23, v8
	v_fma_f32 v23, v20, s7, -v22
	v_sub_f32_e32 v24, v43, v52
	v_add_f32_e32 v5, v5, v39
	v_add_f32_e32 v10, v23, v10
	v_add_f32_e32 v23, v42, v50
	v_mul_f32_e32 v25, 0xbf7e222b, v24
	v_add_f32_e32 v5, v5, v35
	v_fma_f32 v26, v23, s10, -v25
	v_sub_f32_e32 v27, v40, v45
	v_add_f32_e32 v5, v5, v30
	v_add_f32_e32 v10, v26, v10
	v_add_f32_e32 v26, v39, v44
	v_mul_f32_e32 v28, 0xbf6f5d39, v27
	;; [unrolled: 7-line block ×3, first 2 shown]
	v_sub_f32_e32 v95, v32, v34
	v_add_f32_e32 v5, v5, v44
	v_fma_f32 v93, v29, s14, -v91
	v_add_f32_e32 v94, v30, v33
	v_mul_f32_e32 v96, 0xbe750f2a, v95
	ds_write_b32 v89, v8 offset:1248
	v_mov_b32_e32 v8, 2
	v_add_f32_e32 v5, v5, v50
	v_add_f32_e32 v10, v93, v10
	v_fma_f32 v93, v94, s15, -v96
	v_lshlrev_b32_sdwa v8, v8, v88 dst_sel:DWORD dst_unused:UNUSED_PAD src0_sel:DWORD src1_sel:BYTE_0
	v_add_f32_e32 v5, v5, v31
	v_add_f32_e32 v10, v93, v10
	v_add3_u32 v93, 0, v87, v8
	v_add_f32_e32 v5, v5, v67
	ds_write2_b32 v93, v5, v10 offset1:26
	v_mul_f32_e32 v5, 0xbf6f5d39, v21
	v_fma_f32 v8, v20, s11, -v5
	v_mul_f32_e32 v10, 0xbe750f2a, v21
	v_add_f32_e32 v8, v8, v12
	v_fma_f32 v12, v20, s15, -v10
	v_add_f32_e32 v12, v12, v13
	v_mul_f32_e32 v13, 0xbe750f2a, v24
	v_fma_f32 v87, v23, s15, -v13
	v_add_f32_e32 v8, v87, v8
	v_mul_f32_e32 v87, 0x3f6f5d39, v24
	;; [unrolled: 3-line block ×8, first 2 shown]
	v_fma_f32 v102, v94, s14, -v101
	v_add_f32_e32 v12, v102, v12
	ds_write2_b32 v93, v8, v12 offset0:52 offset1:78
	v_mul_f32_e32 v8, 0x3f29c268, v21
	v_fma_f32 v12, v20, s14, -v8
	v_add_f32_e32 v12, v12, v15
	v_mul_f32_e32 v15, 0x3f7e222b, v21
	v_fma_f32 v102, v20, s10, -v15
	v_add_f32_e32 v17, v102, v17
	v_mul_f32_e32 v102, 0x3eedf032, v24
	v_fma_f32 v103, v23, s6, -v102
	v_add_f32_e32 v12, v103, v12
	v_mul_f32_e32 v103, 0xbf52af12, v24
	v_fma_f32 v104, v23, s7, -v103
	v_add_f32_e32 v17, v104, v17
	v_mul_f32_e32 v104, 0xbf7e222b, v27
	v_fma_f32 v105, v26, s10, -v104
	v_add_f32_e32 v12, v105, v12
	v_mul_f32_e32 v105, 0x3e750f2a, v27
	v_fma_f32 v106, v26, s15, -v105
	v_add_f32_e32 v17, v106, v17
	v_mul_f32_e32 v106, 0x3e750f2a, v90
	v_fma_f32 v107, v29, s15, -v106
	v_add_f32_e32 v12, v107, v12
	v_mul_f32_e32 v107, 0x3eedf032, v90
	v_fma_f32 v108, v29, s6, -v107
	v_add_f32_e32 v17, v108, v17
	v_mul_f32_e32 v108, 0x3f52af12, v95
	v_fma_f32 v109, v94, s7, -v108
	v_add_f32_e32 v12, v109, v12
	v_mul_f32_e32 v109, 0xbf6f5d39, v95
	v_fma_f32 v110, v94, s11, -v109
	v_add_f32_e32 v17, v110, v17
	ds_write2_b32 v93, v12, v17 offset0:104 offset1:130
	v_fmac_f32_e32 v10, 0xbf788fa5, v20
	v_mul_f32_e32 v12, 0x3eedf032, v21
	v_fmac_f32_e32 v5, 0xbeb58ec6, v20
	v_add_f32_e32 v10, v10, v14
	v_fma_f32 v14, v20, s6, -v12
	v_fmac_f32_e32 v12, 0x3f62ad3f, v20
	v_add_f32_e32 v5, v5, v11
	v_add_f32_e32 v4, v12, v4
	v_fmac_f32_e32 v13, 0xbf788fa5, v23
	v_mul_f32_e32 v12, 0xbf29c268, v24
	v_fmac_f32_e32 v22, 0x3f116cb1, v20
	v_fmac_f32_e32 v15, 0x3df6dbef, v20
	v_add_f32_e32 v5, v13, v5
	v_fmac_f32_e32 v87, 0xbeb58ec6, v23
	v_fma_f32 v13, v23, s14, -v12
	v_fmac_f32_e32 v12, 0xbf3f9e67, v23
	v_add_f32_e32 v9, v22, v9
	v_fmac_f32_e32 v8, 0xbf3f9e67, v20
	v_add_f32_e32 v11, v15, v18
	v_add_f32_e32 v14, v14, v19
	v_fmac_f32_e32 v25, 0x3df6dbef, v23
	v_add_f32_e32 v10, v87, v10
	v_fmac_f32_e32 v103, 0x3f116cb1, v23
	v_add_f32_e32 v4, v12, v4
	v_fmac_f32_e32 v88, 0xbf3f9e67, v26
	v_fmac_f32_e32 v97, 0x3f62ad3f, v26
	v_mul_f32_e32 v12, 0x3f52af12, v27
	v_add_f32_e32 v8, v8, v16
	v_add_f32_e32 v9, v25, v9
	v_fmac_f32_e32 v102, 0x3f62ad3f, v23
	v_add_f32_e32 v11, v103, v11
	v_add_f32_e32 v13, v13, v14
	v_fmac_f32_e32 v28, 0xbeb58ec6, v26
	;; [unrolled: 3-line block ×3, first 2 shown]
	v_fma_f32 v14, v26, s7, -v12
	v_fmac_f32_e32 v12, 0x3f116cb1, v26
	v_fmac_f32_e32 v98, 0x3df6dbef, v29
	;; [unrolled: 1-line block ×3, first 2 shown]
	v_add_f32_e32 v8, v102, v8
	v_add_f32_e32 v9, v28, v9
	v_fmac_f32_e32 v104, 0x3df6dbef, v26
	v_add_f32_e32 v11, v105, v11
	v_add_f32_e32 v4, v12, v4
	v_fmac_f32_e32 v91, 0xbf3f9e67, v29
	;; [unrolled: 3-line block ×3, first 2 shown]
	v_mul_f32_e32 v12, 0xbf6f5d39, v90
	v_fmac_f32_e32 v100, 0x3f62ad3f, v94
	v_fmac_f32_e32 v101, 0xbf3f9e67, v94
	v_add_f32_e32 v8, v104, v8
	v_add_f32_e32 v13, v14, v13
	;; [unrolled: 1-line block ×3, first 2 shown]
	v_fmac_f32_e32 v106, 0xbf788fa5, v29
	v_add_f32_e32 v11, v107, v11
	v_fma_f32 v14, v29, s11, -v12
	v_fmac_f32_e32 v12, 0xbeb58ec6, v29
	v_fmac_f32_e32 v96, 0xbf788fa5, v94
	v_add_f32_e32 v87, v100, v5
	v_add_f32_e32 v5, v101, v10
	v_fmac_f32_e32 v109, 0xbeb58ec6, v94
	v_mul_f32_e32 v10, 0x3f7e222b, v95
	v_add_f32_e32 v8, v106, v8
	v_add_f32_e32 v13, v14, v13
	;; [unrolled: 1-line block ×4, first 2 shown]
	v_fmac_f32_e32 v108, 0x3f116cb1, v94
	v_add_f32_e32 v9, v109, v11
	v_fma_f32 v11, v94, s10, -v10
	v_fmac_f32_e32 v10, 0x3df6dbef, v94
	v_add_f32_e32 v8, v108, v8
	v_add_f32_e32 v11, v11, v13
	;; [unrolled: 1-line block ×3, first 2 shown]
	v_add_u32_e32 v94, 0x400, v93
	ds_write2_b32 v93, v11, v4 offset0:156 offset1:182
	ds_write2_b32 v93, v9, v8 offset0:208 offset1:234
	;; [unrolled: 1-line block ×3, first 2 shown]
	ds_write_b32 v93, v88 offset:1248
	s_waitcnt lgkmcnt(0)
	; wave barrier
	s_waitcnt lgkmcnt(0)
	ds_read2_b32 v[4:5], v56 offset1:52
	v_add_u32_e32 v95, 0xe00, v56
	ds_read2_b32 v[10:11], v41 offset0:82 offset1:134
	ds_read2_b32 v[12:13], v49 offset0:164 offset1:216
	;; [unrolled: 1-line block ×11, first 2 shown]
                                        ; implicit-def: $vgpr90
                                        ; implicit-def: $vgpr91
	s_and_saveexec_b64 s[4:5], s[2:3]
	s_cbranch_execz .LBB0_13
; %bb.12:
	ds_read_b32 v87, v56 offset:1248
	ds_read_b32 v88, v56 offset:2600
	;; [unrolled: 1-line block ×4, first 2 shown]
.LBB0_13:
	s_or_b64 exec, exec, s[4:5]
	v_add_f32_e32 v96, v6, v80
	v_add_f32_e32 v96, v96, v76
	;; [unrolled: 1-line block ×10, first 2 shown]
	v_sub_f32_e32 v79, v79, v85
	v_add_f32_e32 v96, v96, v84
	v_mul_f32_e32 v85, 0xbeedf032, v79
	v_mul_f32_e32 v97, 0xbf52af12, v79
	;; [unrolled: 1-line block ×6, first 2 shown]
	v_add_f32_e32 v96, v96, v86
	v_add_f32_e32 v80, v80, v86
	v_mov_b32_e32 v86, v85
	v_mov_b32_e32 v98, v97
	;; [unrolled: 1-line block ×6, first 2 shown]
	v_fmac_f32_e32 v86, 0x3f62ad3f, v80
	v_fma_f32 v85, v80, s6, -v85
	v_fmac_f32_e32 v98, 0x3f116cb1, v80
	v_fma_f32 v97, v80, s7, -v97
	;; [unrolled: 2-line block ×6, first 2 shown]
	v_sub_f32_e32 v75, v75, v83
	v_add_f32_e32 v86, v6, v86
	v_add_f32_e32 v85, v6, v85
	v_add_f32_e32 v98, v6, v98
	v_add_f32_e32 v97, v6, v97
	v_add_f32_e32 v100, v6, v100
	v_add_f32_e32 v99, v6, v99
	v_add_f32_e32 v102, v6, v102
	v_add_f32_e32 v101, v6, v101
	v_add_f32_e32 v104, v6, v104
	v_add_f32_e32 v103, v6, v103
	v_add_f32_e32 v105, v6, v105
	v_add_f32_e32 v6, v6, v79
	v_add_f32_e32 v76, v76, v84
	v_mul_f32_e32 v79, 0xbf52af12, v75
	v_mov_b32_e32 v80, v79
	v_fma_f32 v79, v76, s7, -v79
	v_mul_f32_e32 v83, 0xbf6f5d39, v75
	v_fmac_f32_e32 v80, 0x3f116cb1, v76
	v_add_f32_e32 v79, v79, v85
	v_mov_b32_e32 v84, v83
	v_fma_f32 v83, v76, s11, -v83
	v_mul_f32_e32 v85, 0xbe750f2a, v75
	v_add_f32_e32 v80, v80, v86
	v_fmac_f32_e32 v84, 0xbeb58ec6, v76
	v_add_f32_e32 v83, v83, v97
	v_mov_b32_e32 v86, v85
	v_fma_f32 v85, v76, s15, -v85
	v_mul_f32_e32 v97, 0x3f29c268, v75
	v_add_f32_e32 v84, v84, v98
	v_add_f32_e32 v85, v85, v99
	v_mov_b32_e32 v98, v97
	v_fma_f32 v97, v76, s14, -v97
	v_mul_f32_e32 v99, 0x3f7e222b, v75
	v_mul_f32_e32 v75, 0x3eedf032, v75
	v_fmac_f32_e32 v86, 0xbf788fa5, v76
	v_add_f32_e32 v97, v97, v101
	v_mov_b32_e32 v101, v75
	v_fma_f32 v75, v76, s6, -v75
	v_sub_f32_e32 v73, v73, v81
	v_add_f32_e32 v86, v86, v100
	v_mov_b32_e32 v100, v99
	v_add_f32_e32 v6, v75, v6
	v_add_f32_e32 v74, v74, v82
	v_mul_f32_e32 v75, 0xbf7e222b, v73
	v_fmac_f32_e32 v98, 0xbf3f9e67, v76
	v_fmac_f32_e32 v100, 0x3df6dbef, v76
	v_fma_f32 v99, v76, s10, -v99
	v_fmac_f32_e32 v101, 0x3f62ad3f, v76
	v_mov_b32_e32 v76, v75
	v_fma_f32 v75, v74, s10, -v75
	v_fmac_f32_e32 v76, 0x3df6dbef, v74
	v_add_f32_e32 v75, v75, v79
	v_mul_f32_e32 v79, 0xbe750f2a, v73
	v_add_f32_e32 v76, v76, v80
	v_mov_b32_e32 v80, v79
	v_fma_f32 v79, v74, s15, -v79
	v_mul_f32_e32 v81, 0x3f6f5d39, v73
	v_fmac_f32_e32 v80, 0xbf788fa5, v74
	v_add_f32_e32 v79, v79, v83
	v_mov_b32_e32 v82, v81
	v_fma_f32 v81, v74, s11, -v81
	v_mul_f32_e32 v83, 0x3eedf032, v73
	v_add_f32_e32 v80, v80, v84
	v_add_f32_e32 v81, v81, v85
	v_mov_b32_e32 v84, v83
	v_fma_f32 v83, v74, s6, -v83
	v_mul_f32_e32 v85, 0xbf52af12, v73
	v_mul_f32_e32 v73, 0xbf29c268, v73
	v_fmac_f32_e32 v82, 0xbeb58ec6, v74
	v_add_f32_e32 v83, v83, v97
	v_mov_b32_e32 v97, v73
	v_fma_f32 v73, v74, s14, -v73
	v_sub_f32_e32 v69, v69, v77
	v_add_f32_e32 v82, v82, v86
	v_mov_b32_e32 v86, v85
	v_add_f32_e32 v6, v73, v6
	v_add_f32_e32 v70, v70, v78
	v_mul_f32_e32 v73, 0xbf6f5d39, v69
	v_fmac_f32_e32 v84, 0x3f62ad3f, v74
	v_fmac_f32_e32 v86, 0x3f116cb1, v74
	v_fma_f32 v85, v74, s7, -v85
	v_fmac_f32_e32 v97, 0xbf3f9e67, v74
	v_mov_b32_e32 v74, v73
	v_fma_f32 v73, v70, s11, -v73
	v_fmac_f32_e32 v74, 0xbeb58ec6, v70
	v_add_f32_e32 v73, v73, v75
	v_mul_f32_e32 v75, 0x3f29c268, v69
	v_add_f32_e32 v74, v74, v76
	v_mov_b32_e32 v76, v75
	v_fma_f32 v75, v70, s14, -v75
	v_mul_f32_e32 v77, 0x3eedf032, v69
	v_fmac_f32_e32 v76, 0xbf3f9e67, v70
	v_add_f32_e32 v75, v75, v79
	v_mov_b32_e32 v78, v77
	v_fma_f32 v77, v70, s6, -v77
	v_mul_f32_e32 v79, 0xbf7e222b, v69
	v_add_f32_e32 v76, v76, v80
	v_add_f32_e32 v77, v77, v81
	v_mov_b32_e32 v80, v79
	v_fma_f32 v79, v70, s10, -v79
	v_mul_f32_e32 v81, 0x3e750f2a, v69
	v_mul_f32_e32 v69, 0x3f52af12, v69
	v_fmac_f32_e32 v78, 0x3f62ad3f, v70
	v_add_f32_e32 v79, v79, v83
	v_mov_b32_e32 v83, v69
	v_fma_f32 v69, v70, s7, -v69
	v_sub_f32_e32 v65, v65, v71
	v_add_f32_e32 v78, v78, v82
	v_mov_b32_e32 v82, v81
	v_add_f32_e32 v6, v69, v6
	v_add_f32_e32 v66, v66, v72
	v_mul_f32_e32 v69, 0xbf29c268, v65
	v_fmac_f32_e32 v80, 0x3df6dbef, v70
	v_fmac_f32_e32 v82, 0xbf788fa5, v70
	v_fma_f32 v81, v70, s15, -v81
	v_fmac_f32_e32 v83, 0x3f116cb1, v70
	v_mov_b32_e32 v70, v69
	v_fma_f32 v69, v66, s14, -v69
	v_mul_f32_e32 v71, 0x3f7e222b, v65
	v_fmac_f32_e32 v70, 0xbf3f9e67, v66
	v_add_f32_e32 v69, v69, v73
	v_mov_b32_e32 v72, v71
	v_fma_f32 v71, v66, s10, -v71
	v_mul_f32_e32 v73, 0xbf52af12, v65
	v_add_f32_e32 v70, v70, v74
	v_fmac_f32_e32 v72, 0x3df6dbef, v66
	v_add_f32_e32 v71, v71, v75
	v_mov_b32_e32 v74, v73
	v_fma_f32 v73, v66, s7, -v73
	v_mul_f32_e32 v75, 0x3e750f2a, v65
	v_add_f32_e32 v72, v72, v76
	v_add_f32_e32 v73, v73, v77
	v_mov_b32_e32 v76, v75
	v_fma_f32 v75, v66, s15, -v75
	v_mul_f32_e32 v77, 0x3eedf032, v65
	v_mul_f32_e32 v65, 0xbf6f5d39, v65
	v_sub_f32_e32 v60, v60, v63
	v_fmac_f32_e32 v74, 0x3f116cb1, v66
	v_add_f32_e32 v75, v75, v79
	v_mov_b32_e32 v79, v65
	v_fma_f32 v65, v66, s11, -v65
	v_add_f32_e32 v62, v62, v64
	v_mul_f32_e32 v63, 0xbe750f2a, v60
	v_add_f32_e32 v74, v74, v78
	v_mov_b32_e32 v78, v77
	v_add_f32_e32 v6, v65, v6
	v_mov_b32_e32 v64, v63
	v_fma_f32 v63, v62, s15, -v63
	v_mul_f32_e32 v65, 0x3eedf032, v60
	v_fmac_f32_e32 v76, 0xbf788fa5, v66
	v_fmac_f32_e32 v78, 0x3f62ad3f, v66
	v_fma_f32 v77, v66, s6, -v77
	v_fmac_f32_e32 v79, 0xbeb58ec6, v66
	v_fmac_f32_e32 v64, 0xbf788fa5, v62
	v_add_f32_e32 v63, v63, v69
	v_mov_b32_e32 v66, v65
	v_fma_f32 v65, v62, s6, -v65
	v_mul_f32_e32 v69, 0xbf29c268, v60
	v_add_f32_e32 v64, v64, v70
	v_fmac_f32_e32 v66, 0x3f62ad3f, v62
	v_add_f32_e32 v65, v65, v71
	v_mov_b32_e32 v70, v69
	v_fma_f32 v69, v62, s14, -v69
	v_mul_f32_e32 v71, 0x3f52af12, v60
	v_add_f32_e32 v66, v66, v72
	v_add_f32_e32 v69, v69, v73
	v_mov_b32_e32 v72, v71
	v_fma_f32 v71, v62, s7, -v71
	v_mul_f32_e32 v73, 0xbf6f5d39, v60
	v_mul_f32_e32 v60, 0x3f7e222b, v60
	v_add_f32_e32 v71, v71, v75
	v_mov_b32_e32 v75, v60
	v_fma_f32 v60, v62, s10, -v60
	v_add_f32_e32 v6, v60, v6
	v_add_f32_e32 v60, v7, v59
	;; [unrolled: 1-line block ×20, first 2 shown]
	v_fmac_f32_e32 v70, 0xbf3f9e67, v62
	v_add_f32_e32 v60, v60, v52
	v_add_f32_e32 v80, v80, v84
	;; [unrolled: 1-line block ×6, first 2 shown]
	v_mov_b32_e32 v74, v73
	v_fma_f32 v73, v62, s11, -v73
	v_fmac_f32_e32 v75, 0x3df6dbef, v62
	v_add_f32_e32 v60, v60, v61
	v_sub_f32_e32 v53, v53, v67
	v_add_f32_e32 v76, v76, v80
	v_add_f32_e32 v78, v78, v82
	v_fmac_f32_e32 v72, 0x3f116cb1, v62
	v_fmac_f32_e32 v74, 0xbeb58ec6, v62
	v_add_f32_e32 v73, v73, v77
	v_add_f32_e32 v75, v75, v79
	;; [unrolled: 1-line block ×4, first 2 shown]
	v_mul_f32_e32 v60, 0xbeedf032, v53
	v_mul_f32_e32 v68, 0xbf52af12, v53
	;; [unrolled: 1-line block ×6, first 2 shown]
	v_add_f32_e32 v72, v72, v76
	v_add_f32_e32 v74, v74, v78
	v_mov_b32_e32 v67, v60
	v_mov_b32_e32 v76, v68
	;; [unrolled: 1-line block ×6, first 2 shown]
	v_sub_f32_e32 v31, v46, v31
	v_fmac_f32_e32 v67, 0x3f62ad3f, v59
	v_fma_f32 v60, v59, s6, -v60
	v_fmac_f32_e32 v76, 0x3f116cb1, v59
	v_fma_f32 v68, v59, s7, -v68
	;; [unrolled: 2-line block ×6, first 2 shown]
	v_add_f32_e32 v48, v48, v61
	v_mul_f32_e32 v46, 0xbf52af12, v31
	v_add_f32_e32 v67, v7, v67
	v_add_f32_e32 v60, v7, v60
	;; [unrolled: 1-line block ×12, first 2 shown]
	v_mov_b32_e32 v53, v46
	v_fma_f32 v46, v48, s7, -v46
	v_mul_f32_e32 v59, 0xbf6f5d39, v31
	v_fmac_f32_e32 v53, 0x3f116cb1, v48
	v_add_f32_e32 v46, v46, v60
	v_mov_b32_e32 v60, v59
	v_fma_f32 v59, v48, s11, -v59
	v_mul_f32_e32 v61, 0xbe750f2a, v31
	v_add_f32_e32 v53, v53, v67
	v_fmac_f32_e32 v60, 0xbeb58ec6, v48
	v_add_f32_e32 v59, v59, v68
	v_mov_b32_e32 v67, v61
	v_fma_f32 v61, v48, s15, -v61
	v_mul_f32_e32 v68, 0x3f29c268, v31
	v_add_f32_e32 v60, v60, v76
	v_add_f32_e32 v61, v61, v77
	v_mov_b32_e32 v76, v68
	v_fma_f32 v68, v48, s14, -v68
	v_mul_f32_e32 v77, 0x3f7e222b, v31
	v_mul_f32_e32 v31, 0x3eedf032, v31
	v_fmac_f32_e32 v67, 0xbf788fa5, v48
	v_add_f32_e32 v68, v68, v79
	v_mov_b32_e32 v79, v31
	v_fma_f32 v31, v48, s6, -v31
	v_sub_f32_e32 v42, v42, v50
	v_add_f32_e32 v67, v67, v78
	v_mov_b32_e32 v78, v77
	v_add_f32_e32 v7, v31, v7
	v_add_f32_e32 v31, v43, v52
	v_mul_f32_e32 v43, 0xbf7e222b, v42
	v_fmac_f32_e32 v76, 0xbf3f9e67, v48
	v_fmac_f32_e32 v78, 0x3df6dbef, v48
	v_fma_f32 v77, v48, s10, -v77
	v_fmac_f32_e32 v79, 0x3f62ad3f, v48
	v_mov_b32_e32 v48, v43
	v_fma_f32 v43, v31, s10, -v43
	v_add_f32_e32 v43, v43, v46
	v_mul_f32_e32 v46, 0xbe750f2a, v42
	v_fmac_f32_e32 v48, 0x3df6dbef, v31
	v_mov_b32_e32 v50, v46
	v_fma_f32 v46, v31, s15, -v46
	v_mul_f32_e32 v52, 0x3f6f5d39, v42
	v_add_f32_e32 v48, v48, v53
	v_fmac_f32_e32 v50, 0xbf788fa5, v31
	v_add_f32_e32 v46, v46, v59
	v_mov_b32_e32 v53, v52
	v_fma_f32 v52, v31, s11, -v52
	v_mul_f32_e32 v59, 0x3eedf032, v42
	v_add_f32_e32 v50, v50, v60
	v_fmac_f32_e32 v53, 0xbeb58ec6, v31
	v_add_f32_e32 v52, v52, v61
	v_mov_b32_e32 v60, v59
	v_fma_f32 v59, v31, s6, -v59
	v_mul_f32_e32 v61, 0xbf52af12, v42
	v_mul_f32_e32 v42, 0xbf29c268, v42
	v_add_f32_e32 v53, v53, v67
	v_add_f32_e32 v59, v59, v68
	v_mov_b32_e32 v67, v61
	v_mov_b32_e32 v68, v42
	v_fmac_f32_e32 v60, 0x3f62ad3f, v31
	v_fmac_f32_e32 v67, 0x3f116cb1, v31
	v_fma_f32 v61, v31, s7, -v61
	v_fmac_f32_e32 v68, 0xbf3f9e67, v31
	v_fma_f32 v31, v31, s14, -v42
	v_sub_f32_e32 v39, v39, v44
	v_add_f32_e32 v7, v31, v7
	v_add_f32_e32 v31, v40, v45
	v_mul_f32_e32 v40, 0xbf6f5d39, v39
	v_mov_b32_e32 v42, v40
	v_fma_f32 v40, v31, s11, -v40
	v_add_f32_e32 v40, v40, v43
	v_mul_f32_e32 v43, 0x3f29c268, v39
	v_fmac_f32_e32 v42, 0xbeb58ec6, v31
	v_mov_b32_e32 v44, v43
	v_fma_f32 v43, v31, s14, -v43
	v_mul_f32_e32 v45, 0x3eedf032, v39
	v_add_f32_e32 v42, v42, v48
	v_fmac_f32_e32 v44, 0xbf3f9e67, v31
	v_add_f32_e32 v43, v43, v46
	v_mov_b32_e32 v46, v45
	v_fma_f32 v45, v31, s6, -v45
	v_mul_f32_e32 v48, 0xbf7e222b, v39
	v_add_f32_e32 v44, v44, v50
	v_fmac_f32_e32 v46, 0x3f62ad3f, v31
	v_add_f32_e32 v45, v45, v52
	v_mov_b32_e32 v50, v48
	v_fma_f32 v48, v31, s10, -v48
	v_mul_f32_e32 v52, 0x3e750f2a, v39
	v_mul_f32_e32 v39, 0x3f52af12, v39
	v_add_f32_e32 v46, v46, v53
	v_add_f32_e32 v48, v48, v59
	v_mov_b32_e32 v53, v52
	v_mov_b32_e32 v59, v39
	v_fmac_f32_e32 v50, 0x3df6dbef, v31
	v_fmac_f32_e32 v53, 0xbf788fa5, v31
	v_fma_f32 v52, v31, s15, -v52
	v_fmac_f32_e32 v59, 0x3f116cb1, v31
	v_fma_f32 v31, v31, s7, -v39
	v_sub_f32_e32 v35, v35, v37
	v_add_f32_e32 v7, v31, v7
	v_add_f32_e32 v31, v36, v38
	v_mul_f32_e32 v36, 0xbf29c268, v35
	v_mov_b32_e32 v37, v36
	v_fma_f32 v36, v31, s14, -v36
	v_mul_f32_e32 v38, 0x3f7e222b, v35
	v_fmac_f32_e32 v37, 0xbf3f9e67, v31
	v_add_f32_e32 v36, v36, v40
	v_mov_b32_e32 v39, v38
	v_fma_f32 v38, v31, s10, -v38
	v_mul_f32_e32 v40, 0xbf52af12, v35
	v_add_f32_e32 v37, v37, v42
	v_fmac_f32_e32 v39, 0x3df6dbef, v31
	v_add_f32_e32 v38, v38, v43
	v_mov_b32_e32 v42, v40
	v_fma_f32 v40, v31, s7, -v40
	v_mul_f32_e32 v43, 0x3e750f2a, v35
	v_add_f32_e32 v39, v39, v44
	v_fmac_f32_e32 v42, 0x3f116cb1, v31
	v_add_f32_e32 v40, v40, v45
	v_mov_b32_e32 v44, v43
	v_fma_f32 v43, v31, s15, -v43
	v_mul_f32_e32 v45, 0x3eedf032, v35
	v_mul_f32_e32 v35, 0xbf6f5d39, v35
	v_add_f32_e32 v42, v42, v46
	v_add_f32_e32 v43, v43, v48
	v_mov_b32_e32 v46, v45
	v_mov_b32_e32 v48, v35
	v_fmac_f32_e32 v44, 0xbf788fa5, v31
	v_fmac_f32_e32 v46, 0x3f62ad3f, v31
	v_fma_f32 v45, v31, s6, -v45
	v_fmac_f32_e32 v48, 0xbeb58ec6, v31
	v_fma_f32 v31, v31, s11, -v35
	v_sub_f32_e32 v30, v30, v33
	v_add_f32_e32 v76, v76, v80
	v_add_f32_e32 v7, v31, v7
	;; [unrolled: 1-line block ×3, first 2 shown]
	v_mul_f32_e32 v32, 0xbe750f2a, v30
	v_add_f32_e32 v79, v79, v83
	v_add_f32_e32 v60, v60, v76
	v_mov_b32_e32 v33, v32
	v_fma_f32 v32, v31, s15, -v32
	v_add_f32_e32 v68, v68, v79
	v_add_f32_e32 v50, v50, v60
	;; [unrolled: 1-line block ×3, first 2 shown]
	v_mul_f32_e32 v32, 0x3eedf032, v30
	v_add_f32_e32 v59, v59, v68
	v_mov_b32_e32 v34, v32
	v_fma_f32 v32, v31, s6, -v32
	v_add_f32_e32 v78, v78, v82
	v_add_f32_e32 v77, v77, v81
	;; [unrolled: 1-line block ×4, first 2 shown]
	v_mul_f32_e32 v32, 0xbf29c268, v30
	v_add_f32_e32 v67, v67, v78
	v_add_f32_e32 v61, v61, v77
	v_fmac_f32_e32 v33, 0xbf788fa5, v31
	v_fmac_f32_e32 v34, 0x3f62ad3f, v31
	v_mov_b32_e32 v35, v32
	v_fma_f32 v32, v31, s14, -v32
	v_mul_f32_e32 v36, 0x3f52af12, v30
	v_mul_f32_e32 v38, 0xbf6f5d39, v30
	;; [unrolled: 1-line block ×3, first 2 shown]
	v_add_f32_e32 v53, v53, v67
	v_add_f32_e32 v52, v52, v61
	;; [unrolled: 1-line block ×5, first 2 shown]
	v_mov_b32_e32 v37, v36
	v_mov_b32_e32 v39, v38
	;; [unrolled: 1-line block ×3, first 2 shown]
	v_add_f32_e32 v44, v44, v50
	v_add_f32_e32 v46, v46, v53
	;; [unrolled: 1-line block ×3, first 2 shown]
	v_fmac_f32_e32 v35, 0xbf3f9e67, v31
	v_fmac_f32_e32 v37, 0x3f116cb1, v31
	v_fma_f32 v36, v31, s7, -v36
	v_fmac_f32_e32 v39, 0xbeb58ec6, v31
	v_fma_f32 v38, v31, s11, -v38
	v_fmac_f32_e32 v40, 0x3df6dbef, v31
	v_add_f32_e32 v35, v35, v42
	v_add_f32_e32 v37, v37, v44
	;; [unrolled: 1-line block ×6, first 2 shown]
	v_fma_f32 v30, v31, s10, -v30
	v_add_f32_e32 v7, v30, v7
	s_waitcnt lgkmcnt(0)
	; wave barrier
	s_waitcnt lgkmcnt(0)
	ds_write2_b32 v89, v96, v64 offset1:26
	ds_write2_b32 v89, v66, v70 offset0:52 offset1:78
	ds_write2_b32 v89, v72, v74 offset0:104 offset1:130
	;; [unrolled: 1-line block ×5, first 2 shown]
	ds_write_b32 v89, v63 offset:1248
	ds_write2_b32 v93, v62, v33 offset1:26
	ds_write2_b32 v93, v34, v35 offset0:52 offset1:78
	ds_write2_b32 v93, v37, v39 offset0:104 offset1:130
	;; [unrolled: 1-line block ×5, first 2 shown]
	ds_write_b32 v93, v60 offset:1248
	s_waitcnt lgkmcnt(0)
	; wave barrier
	s_waitcnt lgkmcnt(0)
	ds_read2_b32 v[30:31], v56 offset1:52
	ds_read2_b32 v[34:35], v41 offset0:82 offset1:134
	ds_read2_b32 v[36:37], v49 offset0:164 offset1:216
	;; [unrolled: 1-line block ×11, first 2 shown]
                                        ; implicit-def: $vgpr57
                                        ; implicit-def: $vgpr61
	s_and_saveexec_b64 s[4:5], s[2:3]
	s_cbranch_execz .LBB0_15
; %bb.14:
	ds_read_b32 v59, v56 offset:1248
	ds_read_b32 v60, v56 offset:2600
	;; [unrolled: 1-line block ×4, first 2 shown]
	v_mov_b32_e32 v58, v1
.LBB0_15:
	s_or_b64 exec, exec, s[4:5]
	s_and_saveexec_b64 s[4:5], s[0:1]
	s_cbranch_execz .LBB0_18
; %bb.16:
	v_mul_u32_u24_e32 v1, 3, v54
	v_lshlrev_b32_e32 v1, 3, v1
	global_load_dwordx4 v[62:65], v1, s[8:9] offset:2688
	global_load_dwordx2 v[82:83], v1, s[8:9] offset:2704
	v_mov_b32_e32 v1, 0xffffff64
	v_mov_b32_e32 v7, 0
	v_mad_u32_u24 v6, v54, 3, v1
	v_lshlrev_b64 v[66:67], 3, v[6:7]
	v_mov_b32_e32 v56, s9
	v_add_co_u32_e32 v70, vcc, s8, v66
	v_addc_co_u32_e32 v71, vcc, v56, v67, vcc
	global_load_dwordx4 v[66:69], v[70:71], off offset:2688
	global_load_dwordx2 v[84:85], v[70:71], off offset:2704
	v_mov_b32_e32 v1, 0xfffffec8
	v_mad_u32_u24 v6, v54, 3, v1
	v_lshlrev_b64 v[70:71], 3, v[6:7]
	v_mov_b32_e32 v1, 0xfffffe2c
	v_add_co_u32_e32 v74, vcc, s8, v70
	v_addc_co_u32_e32 v75, vcc, v56, v71, vcc
	global_load_dwordx4 v[70:73], v[74:75], off offset:2688
	global_load_dwordx2 v[92:93], v[74:75], off offset:2704
	v_mad_u32_u24 v6, v54, 3, v1
	v_lshlrev_b64 v[74:75], 3, v[6:7]
	v_mov_b32_e32 v76, 0xfffffd90
	v_add_co_u32_e32 v80, vcc, s8, v74
	v_addc_co_u32_e32 v81, vcc, v56, v75, vcc
	v_mad_u32_u24 v6, v54, 3, v76
	global_load_dwordx2 v[94:95], v[80:81], off offset:2704
	global_load_dwordx4 v[74:77], v[80:81], off offset:2688
	v_lshlrev_b64 v[78:79], 3, v[6:7]
	s_movk_i32 s0, 0x1000
	v_add_co_u32_e32 v96, vcc, s8, v78
	v_addc_co_u32_e32 v97, vcc, v56, v79, vcc
	global_load_dwordx2 v[98:99], v[96:97], off offset:2704
	global_load_dwordx4 v[78:81], v[96:97], off offset:2688
	s_mov_b32 s4, 0x60f25deb
	s_movk_i32 s1, 0x2000
	s_movk_i32 s5, 0x680
	s_waitcnt vmcnt(9) lgkmcnt(1)
	v_mul_f32_e32 v1, v53, v64
	v_mul_f32_e32 v6, v49, v63
	s_waitcnt vmcnt(8) lgkmcnt(0)
	v_mul_f32_e32 v56, v51, v83
	v_mul_f32_e32 v53, v53, v65
	v_mul_f32_e32 v86, v27, v63
	v_mul_f32_e32 v63, v29, v83
	v_fmac_f32_e32 v1, v25, v65
	v_fma_f32 v6, v27, v62, -v6
	v_fma_f32 v27, v29, v82, -v56
	v_fma_f32 v25, v25, v64, -v53
	v_fmac_f32_e32 v86, v49, v62
	v_fmac_f32_e32 v63, v51, v82
	v_sub_f32_e32 v1, v47, v1
	v_sub_f32_e32 v27, v6, v27
	;; [unrolled: 1-line block ×4, first 2 shown]
	v_add_f32_e32 v63, v1, v27
	v_fma_f32 v23, v23, 2.0, -v25
	v_fma_f32 v6, v6, 2.0, -v27
	s_waitcnt vmcnt(7)
	v_mul_f32_e32 v49, v52, v68
	v_mul_f32_e32 v27, v48, v67
	s_waitcnt vmcnt(6)
	v_mul_f32_e32 v53, v50, v85
	v_mul_f32_e32 v56, v52, v69
	v_fma_f32 v47, v47, 2.0, -v1
	v_fma_f32 v52, v1, 2.0, -v63
	v_sub_f32_e32 v64, v23, v6
	v_fmac_f32_e32 v49, v24, v69
	v_fma_f32 v1, v26, v66, -v27
	v_fma_f32 v6, v28, v84, -v53
	;; [unrolled: 1-line block ×3, first 2 shown]
	v_mul_f32_e32 v67, v26, v67
	v_mul_f32_e32 v82, v28, v85
	v_sub_f32_e32 v6, v1, v6
	v_sub_f32_e32 v24, v22, v24
	;; [unrolled: 1-line block ×3, first 2 shown]
	v_fma_f32 v29, v86, 2.0, -v29
	v_fmac_f32_e32 v67, v48, v66
	v_fmac_f32_e32 v82, v50, v84
	v_fma_f32 v26, v23, 2.0, -v64
	v_sub_f32_e32 v23, v46, v49
	v_fma_f32 v22, v22, 2.0, -v24
	v_fma_f32 v1, v1, 2.0, -v6
	;; [unrolled: 1-line block ×3, first 2 shown]
	v_sub_f32_e32 v65, v47, v29
	v_sub_f32_e32 v25, v67, v82
	v_add_f32_e32 v29, v23, v6
	v_sub_f32_e32 v49, v22, v1
	v_sub_f32_e32 v28, v24, v25
	v_fma_f32 v48, v23, 2.0, -v29
	v_fma_f32 v23, v46, 2.0, -v23
	;; [unrolled: 1-line block ×4, first 2 shown]
	v_mul_u32_u24_e32 v22, 3, v0
	v_sub_f32_e32 v50, v23, v25
	v_lshlrev_b32_e32 v46, 3, v22
	v_fma_f32 v27, v47, 2.0, -v65
	v_fma_f32 v47, v24, 2.0, -v28
	;; [unrolled: 1-line block ×3, first 2 shown]
	global_load_dwordx2 v[68:69], v46, s[8:9] offset:2704
	global_load_dwordx4 v[22:25], v46, s[8:9] offset:2688
	s_waitcnt vmcnt(7)
	v_mul_f32_e32 v1, v21, v73
	v_mul_f32_e32 v6, v41, v71
	s_waitcnt vmcnt(6)
	v_mul_f32_e32 v46, v43, v93
	v_fmac_f32_e32 v1, v45, v72
	v_fma_f32 v6, v17, v70, -v6
	v_fma_f32 v46, v19, v92, -v46
	v_mul_f32_e32 v17, v17, v71
	v_mul_f32_e32 v19, v19, v93
	v_sub_f32_e32 v1, v39, v1
	v_sub_f32_e32 v53, v6, v46
	v_fmac_f32_e32 v17, v41, v70
	v_fmac_f32_e32 v19, v43, v92
	v_add_f32_e32 v46, v1, v53
	v_mul_f32_e32 v45, v45, v73
	v_sub_f32_e32 v19, v17, v19
	v_fma_f32 v83, v1, 2.0, -v46
	v_fma_f32 v21, v21, v72, -v45
	v_fma_f32 v1, v39, 2.0, -v1
	v_fma_f32 v17, v17, 2.0, -v19
	v_sub_f32_e32 v21, v15, v21
	v_sub_f32_e32 v71, v1, v17
	v_fma_f32 v73, v1, 2.0, -v71
	v_fma_f32 v1, v15, 2.0, -v21
	;; [unrolled: 1-line block ×3, first 2 shown]
	v_sub_f32_e32 v70, v1, v6
	s_waitcnt vmcnt(4)
	v_mul_f32_e32 v6, v40, v75
	v_mul_f32_e32 v15, v42, v95
	v_fma_f32 v6, v16, v74, -v6
	v_fma_f32 v15, v18, v94, -v15
	v_sub_f32_e32 v39, v6, v15
	v_mul_f32_e32 v15, v44, v77
	v_fma_f32 v72, v1, 2.0, -v70
	v_mul_f32_e32 v1, v20, v77
	v_fma_f32 v15, v20, v76, -v15
	v_fmac_f32_e32 v1, v44, v76
	v_sub_f32_e32 v20, v14, v15
	v_mul_f32_e32 v15, v16, v75
	v_mul_f32_e32 v16, v18, v95
	v_sub_f32_e32 v45, v21, v19
	v_sub_f32_e32 v1, v38, v1
	v_fmac_f32_e32 v15, v40, v74
	v_fmac_f32_e32 v16, v42, v94
	v_fma_f32 v82, v21, 2.0, -v45
	v_add_f32_e32 v17, v1, v39
	v_sub_f32_e32 v21, v15, v16
	v_fma_f32 v19, v1, 2.0, -v17
	v_fma_f32 v1, v38, 2.0, -v1
	;; [unrolled: 1-line block ×3, first 2 shown]
	v_sub_f32_e32 v15, v1, v15
	v_sub_f32_e32 v16, v20, v21
	v_fma_f32 v21, v1, 2.0, -v15
	v_fma_f32 v1, v14, 2.0, -v20
	v_fma_f32 v6, v6, 2.0, -v39
	v_sub_f32_e32 v14, v1, v6
	s_waitcnt vmcnt(2)
	v_mul_f32_e32 v6, v35, v79
	v_fma_f32 v41, v11, v78, -v6
	v_mul_f32_e32 v6, v33, v99
	v_fma_f32 v6, v9, v98, -v6
	v_sub_f32_e32 v43, v41, v6
	v_mul_f32_e32 v6, v37, v81
	v_fma_f32 v18, v20, 2.0, -v16
	v_fma_f32 v20, v1, 2.0, -v14
	v_mul_f32_e32 v1, v13, v81
	v_fma_f32 v6, v13, v80, -v6
	v_fmac_f32_e32 v1, v37, v80
	v_sub_f32_e32 v13, v5, v6
	v_mul_f32_e32 v6, v11, v79
	v_mul_f32_e32 v9, v9, v99
	v_sub_f32_e32 v1, v31, v1
	v_fmac_f32_e32 v6, v35, v78
	v_fmac_f32_e32 v9, v33, v98
	v_add_f32_e32 v38, v1, v43
	v_sub_f32_e32 v9, v6, v9
	v_fma_f32 v40, v1, 2.0, -v38
	v_fma_f32 v1, v31, 2.0, -v1
	;; [unrolled: 1-line block ×3, first 2 shown]
	v_sub_f32_e32 v6, v1, v6
	v_fma_f32 v42, v1, 2.0, -v6
	v_fma_f32 v1, v5, 2.0, -v13
	;; [unrolled: 1-line block ×3, first 2 shown]
	v_sub_f32_e32 v37, v13, v9
	v_sub_f32_e32 v5, v1, v5
	s_waitcnt vmcnt(0)
	v_mul_f32_e32 v9, v34, v23
	v_fma_f32 v39, v13, 2.0, -v37
	v_fma_f32 v41, v1, 2.0, -v5
	v_mul_f32_e32 v1, v12, v25
	v_fma_f32 v31, v10, v22, -v9
	v_mul_f32_e32 v9, v32, v69
	v_mul_f32_e32 v13, v36, v25
	v_fmac_f32_e32 v1, v36, v24
	v_fma_f32 v9, v8, v68, -v9
	v_fma_f32 v12, v12, v24, -v13
	v_mul_f32_e32 v13, v10, v23
	v_mul_f32_e32 v8, v8, v69
	v_sub_f32_e32 v1, v30, v1
	v_sub_f32_e32 v33, v31, v9
	v_fmac_f32_e32 v13, v34, v22
	v_fmac_f32_e32 v8, v32, v68
	v_add_f32_e32 v9, v1, v33
	v_sub_f32_e32 v22, v13, v8
	v_fma_f32 v11, v1, 2.0, -v9
	v_fma_f32 v1, v30, 2.0, -v1
	;; [unrolled: 1-line block ×3, first 2 shown]
	v_sub_f32_e32 v12, v4, v12
	v_sub_f32_e32 v13, v1, v13
	;; [unrolled: 1-line block ×3, first 2 shown]
	v_fma_f32 v23, v1, 2.0, -v13
	v_fma_f32 v1, v4, 2.0, -v12
	;; [unrolled: 1-line block ×4, first 2 shown]
	v_sub_f32_e32 v12, v1, v4
	v_fma_f32 v22, v1, 2.0, -v12
	v_mov_b32_e32 v1, v7
	v_mov_b32_e32 v4, s13
	v_add_co_u32_e32 v24, vcc, s12, v2
	v_lshlrev_b64 v[1:2], 3, v[0:1]
	v_addc_co_u32_e32 v25, vcc, v4, v3, vcc
	v_add_co_u32_e32 v1, vcc, v24, v1
	v_addc_co_u32_e32 v2, vcc, v25, v2, vcc
	v_add_co_u32_e32 v3, vcc, s0, v1
	v_addc_co_u32_e32 v4, vcc, 0, v2, vcc
	global_store_dwordx2 v[1:2], v[22:23], off
	global_store_dwordx2 v[1:2], v[10:11], off offset:2704
	global_store_dwordx2 v[3:4], v[12:13], off offset:1312
	;; [unrolled: 1-line block ×6, first 2 shown]
	v_or_b32_e32 v6, 0x340, v0
	v_mul_hi_u32 v0, v55, s4
	v_add_co_u32_e32 v8, vcc, s1, v1
	v_lshlrev_b64 v[5:6], 3, v[6:7]
	v_addc_co_u32_e32 v9, vcc, 0, v2, vcc
	v_add_co_u32_e32 v5, vcc, v24, v5
	v_addc_co_u32_e32 v6, vcc, v25, v6, vcc
	v_lshrrev_b32_e32 v0, 7, v0
	global_store_dwordx2 v[8:9], v[37:38], off offset:336
	global_store_dwordx2 v[1:2], v[20:21], off offset:832
	;; [unrolled: 1-line block ×7, first 2 shown]
	global_store_dwordx2 v[5:6], v[70:71], off
	global_store_dwordx2 v[8:9], v[45:46], off offset:1168
	v_mul_u32_u24_e32 v6, 0x3f6, v0
	v_lshlrev_b64 v[5:6], 3, v[6:7]
	v_mul_hi_u32 v0, v54, s4
	v_add_co_u32_e32 v5, vcc, v1, v5
	v_addc_co_u32_e32 v6, vcc, v2, v6, vcc
	v_add_co_u32_e32 v8, vcc, s5, v5
	v_addc_co_u32_e32 v9, vcc, 0, v6, vcc
	global_store_dwordx2 v[5:6], v[66:67], off offset:1664
	global_store_dwordx2 v[8:9], v[47:48], off offset:2704
	v_add_co_u32_e32 v8, vcc, s0, v5
	v_addc_co_u32_e32 v9, vcc, 0, v6, vcc
	v_add_co_u32_e32 v5, vcc, s1, v5
	v_addc_co_u32_e32 v6, vcc, 0, v6, vcc
	v_lshrrev_b32_e32 v0, 7, v0
	global_store_dwordx2 v[5:6], v[28:29], off offset:1584
	v_mul_u32_u24_e32 v6, 0x3f6, v0
	v_lshlrev_b64 v[5:6], 3, v[6:7]
	global_store_dwordx2 v[8:9], v[49:50], off offset:2976
	v_add_co_u32_e32 v5, vcc, v1, v5
	v_addc_co_u32_e32 v6, vcc, v2, v6, vcc
	v_add_co_u32_e32 v8, vcc, 0x820, v5
	v_addc_co_u32_e32 v9, vcc, 0, v6, vcc
	global_store_dwordx2 v[5:6], v[26:27], off offset:2080
	global_store_dwordx2 v[8:9], v[51:52], off offset:2704
	v_add_co_u32_e32 v8, vcc, 0x1000, v5
	v_addc_co_u32_e32 v9, vcc, 0, v6, vcc
	v_add_co_u32_e32 v5, vcc, 0x2000, v5
	v_addc_co_u32_e32 v6, vcc, 0, v6, vcc
	global_store_dwordx2 v[8:9], v[64:65], off offset:3392
	global_store_dwordx2 v[5:6], v[62:63], off offset:2000
	s_and_b64 exec, exec, s[2:3]
	s_cbranch_execz .LBB0_18
; %bb.17:
	v_mul_i32_i24_e32 v6, 3, v58
	v_lshlrev_b64 v[5:6], 3, v[6:7]
	v_mov_b32_e32 v0, s9
	v_add_co_u32_e32 v9, vcc, s8, v5
	v_addc_co_u32_e32 v10, vcc, v0, v6, vcc
	global_load_dwordx4 v[5:8], v[9:10], off offset:2688
	global_load_dwordx2 v[11:12], v[9:10], off offset:2704
	v_add_co_u32_e32 v9, vcc, 0x2000, v1
	v_addc_co_u32_e32 v10, vcc, 0, v2, vcc
	s_waitcnt vmcnt(1)
	v_mul_f32_e32 v0, v60, v6
	v_mul_f32_e32 v6, v88, v6
	;; [unrolled: 1-line block ×4, first 2 shown]
	s_waitcnt vmcnt(0)
	v_mul_f32_e32 v14, v61, v12
	v_mul_f32_e32 v12, v91, v12
	v_fma_f32 v0, v88, v5, -v0
	v_fmac_f32_e32 v6, v60, v5
	v_fma_f32 v5, v90, v7, -v13
	v_fmac_f32_e32 v8, v57, v7
	;; [unrolled: 2-line block ×3, first 2 shown]
	v_sub_f32_e32 v11, v87, v5
	v_sub_f32_e32 v13, v59, v8
	;; [unrolled: 1-line block ×4, first 2 shown]
	v_fma_f32 v14, v87, 2.0, -v11
	v_fma_f32 v15, v59, 2.0, -v13
	;; [unrolled: 1-line block ×4, first 2 shown]
	v_sub_f32_e32 v5, v11, v5
	v_add_f32_e32 v6, v13, v7
	v_sub_f32_e32 v7, v14, v0
	v_sub_f32_e32 v8, v15, v8
	v_fma_f32 v11, v11, 2.0, -v5
	v_fma_f32 v12, v13, 2.0, -v6
	;; [unrolled: 1-line block ×4, first 2 shown]
	global_store_dwordx2 v[3:4], v[11:12], off offset:1104
	global_store_dwordx2 v[3:4], v[7:8], off offset:3808
	;; [unrolled: 1-line block ×4, first 2 shown]
.LBB0_18:
	s_endpgm
	.section	.rodata,"a",@progbits
	.p2align	6, 0x0
	.amdhsa_kernel fft_rtc_fwd_len1352_factors_2_13_13_4_wgs_52_tpt_52_halfLds_sp_ip_CI_unitstride_sbrr_dirReg
		.amdhsa_group_segment_fixed_size 0
		.amdhsa_private_segment_fixed_size 0
		.amdhsa_kernarg_size 88
		.amdhsa_user_sgpr_count 6
		.amdhsa_user_sgpr_private_segment_buffer 1
		.amdhsa_user_sgpr_dispatch_ptr 0
		.amdhsa_user_sgpr_queue_ptr 0
		.amdhsa_user_sgpr_kernarg_segment_ptr 1
		.amdhsa_user_sgpr_dispatch_id 0
		.amdhsa_user_sgpr_flat_scratch_init 0
		.amdhsa_user_sgpr_private_segment_size 0
		.amdhsa_uses_dynamic_stack 0
		.amdhsa_system_sgpr_private_segment_wavefront_offset 0
		.amdhsa_system_sgpr_workgroup_id_x 1
		.amdhsa_system_sgpr_workgroup_id_y 0
		.amdhsa_system_sgpr_workgroup_id_z 0
		.amdhsa_system_sgpr_workgroup_info 0
		.amdhsa_system_vgpr_workitem_id 0
		.amdhsa_next_free_vgpr 122
		.amdhsa_next_free_sgpr 22
		.amdhsa_reserve_vcc 1
		.amdhsa_reserve_flat_scratch 0
		.amdhsa_float_round_mode_32 0
		.amdhsa_float_round_mode_16_64 0
		.amdhsa_float_denorm_mode_32 3
		.amdhsa_float_denorm_mode_16_64 3
		.amdhsa_dx10_clamp 1
		.amdhsa_ieee_mode 1
		.amdhsa_fp16_overflow 0
		.amdhsa_exception_fp_ieee_invalid_op 0
		.amdhsa_exception_fp_denorm_src 0
		.amdhsa_exception_fp_ieee_div_zero 0
		.amdhsa_exception_fp_ieee_overflow 0
		.amdhsa_exception_fp_ieee_underflow 0
		.amdhsa_exception_fp_ieee_inexact 0
		.amdhsa_exception_int_div_zero 0
	.end_amdhsa_kernel
	.text
.Lfunc_end0:
	.size	fft_rtc_fwd_len1352_factors_2_13_13_4_wgs_52_tpt_52_halfLds_sp_ip_CI_unitstride_sbrr_dirReg, .Lfunc_end0-fft_rtc_fwd_len1352_factors_2_13_13_4_wgs_52_tpt_52_halfLds_sp_ip_CI_unitstride_sbrr_dirReg
                                        ; -- End function
	.section	.AMDGPU.csdata,"",@progbits
; Kernel info:
; codeLenInByte = 17348
; NumSgprs: 26
; NumVgprs: 122
; ScratchSize: 0
; MemoryBound: 0
; FloatMode: 240
; IeeeMode: 1
; LDSByteSize: 0 bytes/workgroup (compile time only)
; SGPRBlocks: 3
; VGPRBlocks: 30
; NumSGPRsForWavesPerEU: 26
; NumVGPRsForWavesPerEU: 122
; Occupancy: 2
; WaveLimiterHint : 1
; COMPUTE_PGM_RSRC2:SCRATCH_EN: 0
; COMPUTE_PGM_RSRC2:USER_SGPR: 6
; COMPUTE_PGM_RSRC2:TRAP_HANDLER: 0
; COMPUTE_PGM_RSRC2:TGID_X_EN: 1
; COMPUTE_PGM_RSRC2:TGID_Y_EN: 0
; COMPUTE_PGM_RSRC2:TGID_Z_EN: 0
; COMPUTE_PGM_RSRC2:TIDIG_COMP_CNT: 0
	.type	__hip_cuid_d32e48259905bf87,@object ; @__hip_cuid_d32e48259905bf87
	.section	.bss,"aw",@nobits
	.globl	__hip_cuid_d32e48259905bf87
__hip_cuid_d32e48259905bf87:
	.byte	0                               ; 0x0
	.size	__hip_cuid_d32e48259905bf87, 1

	.ident	"AMD clang version 19.0.0git (https://github.com/RadeonOpenCompute/llvm-project roc-6.4.0 25133 c7fe45cf4b819c5991fe208aaa96edf142730f1d)"
	.section	".note.GNU-stack","",@progbits
	.addrsig
	.addrsig_sym __hip_cuid_d32e48259905bf87
	.amdgpu_metadata
---
amdhsa.kernels:
  - .args:
      - .actual_access:  read_only
        .address_space:  global
        .offset:         0
        .size:           8
        .value_kind:     global_buffer
      - .offset:         8
        .size:           8
        .value_kind:     by_value
      - .actual_access:  read_only
        .address_space:  global
        .offset:         16
        .size:           8
        .value_kind:     global_buffer
      - .actual_access:  read_only
        .address_space:  global
        .offset:         24
        .size:           8
        .value_kind:     global_buffer
      - .offset:         32
        .size:           8
        .value_kind:     by_value
      - .actual_access:  read_only
        .address_space:  global
        .offset:         40
        .size:           8
        .value_kind:     global_buffer
      - .actual_access:  read_only
        .address_space:  global
        .offset:         48
        .size:           8
        .value_kind:     global_buffer
      - .offset:         56
        .size:           4
        .value_kind:     by_value
      - .actual_access:  read_only
        .address_space:  global
        .offset:         64
        .size:           8
        .value_kind:     global_buffer
      - .actual_access:  read_only
        .address_space:  global
        .offset:         72
        .size:           8
        .value_kind:     global_buffer
      - .address_space:  global
        .offset:         80
        .size:           8
        .value_kind:     global_buffer
    .group_segment_fixed_size: 0
    .kernarg_segment_align: 8
    .kernarg_segment_size: 88
    .language:       OpenCL C
    .language_version:
      - 2
      - 0
    .max_flat_workgroup_size: 52
    .name:           fft_rtc_fwd_len1352_factors_2_13_13_4_wgs_52_tpt_52_halfLds_sp_ip_CI_unitstride_sbrr_dirReg
    .private_segment_fixed_size: 0
    .sgpr_count:     26
    .sgpr_spill_count: 0
    .symbol:         fft_rtc_fwd_len1352_factors_2_13_13_4_wgs_52_tpt_52_halfLds_sp_ip_CI_unitstride_sbrr_dirReg.kd
    .uniform_work_group_size: 1
    .uses_dynamic_stack: false
    .vgpr_count:     122
    .vgpr_spill_count: 0
    .wavefront_size: 64
amdhsa.target:   amdgcn-amd-amdhsa--gfx906
amdhsa.version:
  - 1
  - 2
...

	.end_amdgpu_metadata
